;; amdgpu-corpus repo=ROCm/rocFFT kind=compiled arch=gfx1201 opt=O3
	.text
	.amdgcn_target "amdgcn-amd-amdhsa--gfx1201"
	.amdhsa_code_object_version 6
	.protected	bluestein_single_back_len374_dim1_dp_op_CI_CI ; -- Begin function bluestein_single_back_len374_dim1_dp_op_CI_CI
	.globl	bluestein_single_back_len374_dim1_dp_op_CI_CI
	.p2align	8
	.type	bluestein_single_back_len374_dim1_dp_op_CI_CI,@function
bluestein_single_back_len374_dim1_dp_op_CI_CI: ; @bluestein_single_back_len374_dim1_dp_op_CI_CI
; %bb.0:
	s_load_b128 s[4:7], s[0:1], 0x28
	v_mul_u32_u24_e32 v1, 0x788, v0
	s_mov_b32 s2, exec_lo
	s_delay_alu instid0(VALU_DEP_1) | instskip(NEXT) | instid1(VALU_DEP_1)
	v_lshrrev_b32_e32 v1, 16, v1
	v_mad_co_u64_u32 v[4:5], null, ttmp9, 7, v[1:2]
	v_mov_b32_e32 v5, 0
                                        ; kill: def $vgpr2 killed $sgpr0 killed $exec
	s_wait_kmcnt 0x0
	s_delay_alu instid0(VALU_DEP_1)
	v_cmpx_gt_u64_e64 s[4:5], v[4:5]
	s_cbranch_execz .LBB0_23
; %bb.1:
	v_mul_hi_u32 v2, 0x24924925, v4
	v_mul_lo_u16 v1, v1, 34
	s_clause 0x1
	s_load_b64 s[12:13], s[0:1], 0x0
	s_load_b64 s[14:15], s[0:1], 0x38
	s_delay_alu instid0(VALU_DEP_1) | instskip(SKIP_1) | instid1(VALU_DEP_4)
	v_sub_nc_u16 v0, v0, v1
	v_mov_b32_e32 v1, v4
	v_sub_nc_u32_e32 v3, v4, v2
	s_delay_alu instid0(VALU_DEP_3) | instskip(SKIP_1) | instid1(VALU_DEP_3)
	v_and_b32_e32 v255, 0xffff, v0
	v_cmp_gt_u16_e32 vcc_lo, 22, v0
	v_lshrrev_b32_e32 v3, 1, v3
	s_delay_alu instid0(VALU_DEP_3) | instskip(NEXT) | instid1(VALU_DEP_2)
	v_lshlrev_b32_e32 v148, 4, v255
	v_add_nc_u32_e32 v2, v3, v2
	s_delay_alu instid0(VALU_DEP_1) | instskip(NEXT) | instid1(VALU_DEP_1)
	v_lshrrev_b32_e32 v2, 2, v2
	v_mul_lo_u32 v2, v2, 7
	scratch_store_b64 off, v[1:2], off offset:4 ; 8-byte Folded Spill
	v_sub_nc_u32_e32 v1, v4, v2
	s_delay_alu instid0(VALU_DEP_1) | instskip(NEXT) | instid1(VALU_DEP_1)
	v_mul_u32_u24_e32 v193, 0x176, v1
	v_lshlrev_b32_e32 v0, 4, v193
	scratch_store_b32 off, v0, off          ; 4-byte Folded Spill
	v_or_b32_e32 v0, 0x160, v255
	scratch_store_b32 off, v0, off offset:300 ; 4-byte Folded Spill
	s_and_saveexec_b32 s3, vcc_lo
	s_cbranch_execz .LBB0_3
; %bb.2:
	scratch_load_b64 v[0:1], off, off offset:4 ; 8-byte Folded Reload
	s_load_b64 s[4:5], s[0:1], 0x18
	v_or_b32_e32 v66, 0x160, v255
	s_wait_kmcnt 0x0
	s_load_b128 s[8:11], s[4:5], 0x0
	s_wait_kmcnt 0x0
	v_mad_co_u64_u32 v[60:61], null, s8, v255, 0
	v_mad_co_u64_u32 v[62:63], null, s8, v66, 0
	s_mul_u64 s[4:5], s[8:9], 0x160
	s_wait_loadcnt 0x0
	s_delay_alu instid0(VALU_DEP_2)
	v_dual_mov_b32 v33, v61 :: v_dual_mov_b32 v34, v0
	s_clause 0x7
	global_load_b128 v[0:3], v148, s[12:13]
	global_load_b128 v[4:7], v148, s[12:13] offset:352
	global_load_b128 v[8:11], v148, s[12:13] offset:704
	;; [unrolled: 1-line block ×7, first 2 shown]
	v_mad_co_u64_u32 v[56:57], null, s10, v34, 0
	v_mad_co_u64_u32 v[58:59], null, s9, v255, v[33:34]
	s_delay_alu instid0(VALU_DEP_1) | instskip(NEXT) | instid1(VALU_DEP_1)
	v_dual_mov_b32 v32, v57 :: v_dual_mov_b32 v61, v58
	v_mad_co_u64_u32 v[48:49], null, s11, v34, v[32:33]
	s_delay_alu instid0(VALU_DEP_2)
	v_lshlrev_b64_e32 v[60:61], 4, v[60:61]
	s_clause 0x3
	global_load_b128 v[32:35], v148, s[12:13] offset:2816
	global_load_b128 v[36:39], v148, s[12:13] offset:3168
	global_load_b128 v[40:43], v148, s[12:13] offset:3520
	global_load_b128 v[44:47], v148, s[12:13] offset:3872
	v_mov_b32_e32 v57, v48
	s_clause 0x1
	global_load_b128 v[48:51], v148, s[12:13] offset:4224
	global_load_b128 v[52:55], v148, s[12:13] offset:4576
	v_lshlrev_b64_e32 v[64:65], 4, v[56:57]
	global_load_b128 v[56:59], v148, s[12:13] offset:5632
	v_mad_co_u64_u32 v[66:67], null, s9, v66, v[63:64]
	v_add_co_u32 v67, s2, s6, v64
	s_delay_alu instid0(VALU_DEP_1) | instskip(NEXT) | instid1(VALU_DEP_2)
	v_add_co_ci_u32_e64 v70, s2, s7, v65, s2
	v_add_co_u32 v64, s2, v67, v60
	s_wait_alu 0xf1ff
	s_delay_alu instid0(VALU_DEP_2)
	v_add_co_ci_u32_e64 v65, s2, v70, v61, s2
	v_mov_b32_e32 v63, v66
	s_wait_alu 0xfffe
	v_add_co_u32 v68, s2, v64, s4
	s_wait_alu 0xf1ff
	v_add_co_ci_u32_e64 v69, s2, s5, v65, s2
	v_lshlrev_b64_e32 v[60:61], 4, v[62:63]
	s_delay_alu instid0(VALU_DEP_3) | instskip(SKIP_1) | instid1(VALU_DEP_3)
	v_add_co_u32 v72, s2, v68, s4
	s_wait_alu 0xf1ff
	v_add_co_ci_u32_e64 v73, s2, s5, v69, s2
	s_delay_alu instid0(VALU_DEP_3)
	v_add_co_u32 v60, s2, v67, v60
	s_wait_alu 0xf1ff
	v_add_co_ci_u32_e64 v61, s2, v70, v61, s2
	v_add_co_u32 v76, s2, v72, s4
	s_wait_alu 0xf1ff
	v_add_co_ci_u32_e64 v77, s2, s5, v73, s2
	global_load_b128 v[60:63], v[60:61], off
	v_add_co_u32 v80, s2, v76, s4
	s_wait_alu 0xf1ff
	v_add_co_ci_u32_e64 v81, s2, s5, v77, s2
	s_clause 0x1
	global_load_b128 v[64:67], v[64:65], off
	global_load_b128 v[68:71], v[68:69], off
	v_add_co_u32 v84, s2, v80, s4
	s_wait_alu 0xf1ff
	v_add_co_ci_u32_e64 v85, s2, s5, v81, s2
	s_clause 0x1
	global_load_b128 v[72:75], v[72:73], off
	global_load_b128 v[76:79], v[76:77], off
	v_add_co_u32 v88, s2, v84, s4
	s_wait_alu 0xf1ff
	v_add_co_ci_u32_e64 v89, s2, s5, v85, s2
	global_load_b128 v[80:83], v[80:81], off
	v_add_co_u32 v92, s2, v88, s4
	s_wait_alu 0xf1ff
	v_add_co_ci_u32_e64 v93, s2, s5, v89, s2
	;; [unrolled: 4-line block ×10, first 2 shown]
	global_load_b128 v[116:119], v[116:117], off
	global_load_b128 v[120:123], v[120:121], off
	s_clause 0x1
	global_load_b128 v[124:127], v148, s[12:13] offset:4928
	global_load_b128 v[128:131], v148, s[12:13] offset:5280
	global_load_b128 v[132:135], v[132:133], off
	s_wait_loadcnt 0x12
	v_mul_f64_e32 v[138:139], v[62:63], v[58:59]
	v_mul_f64_e32 v[171:172], v[60:61], v[58:59]
	s_wait_loadcnt 0x11
	v_mul_f64_e32 v[136:137], v[66:67], v[2:3]
	v_mul_f64_e32 v[2:3], v[64:65], v[2:3]
	;; [unrolled: 3-line block ×11, first 2 shown]
	v_fma_f64 v[64:65], v[64:65], v[0:1], v[136:137]
	v_fma_f64 v[66:67], v[66:67], v[0:1], -v[2:3]
	v_fma_f64 v[0:1], v[60:61], v[56:57], v[138:139]
	s_wait_loadcnt 0x7
	v_mul_f64_e32 v[159:160], v[106:107], v[42:43]
	v_mul_f64_e32 v[42:43], v[104:105], v[42:43]
	v_fma_f64 v[58:59], v[68:69], v[4:5], v[140:141]
	v_fma_f64 v[60:61], v[70:71], v[4:5], -v[6:7]
	v_fma_f64 v[4:5], v[72:73], v[8:9], v[142:143]
	s_wait_loadcnt 0x6
	v_mul_f64_e32 v[161:162], v[110:111], v[46:47]
	v_mul_f64_e32 v[46:47], v[108:109], v[46:47]
	v_fma_f64 v[6:7], v[74:75], v[8:9], -v[10:11]
	v_fma_f64 v[8:9], v[76:77], v[12:13], v[144:145]
	v_fma_f64 v[10:11], v[78:79], v[12:13], -v[14:15]
	s_wait_loadcnt 0x5
	v_mul_f64_e32 v[163:164], v[114:115], v[50:51]
	v_mul_f64_e32 v[50:51], v[112:113], v[50:51]
	s_wait_loadcnt 0x4
	v_mul_f64_e32 v[165:166], v[118:119], v[54:55]
	v_mul_f64_e32 v[54:55], v[116:117], v[54:55]
	;; [unrolled: 3-line block ×4, first 2 shown]
	v_fma_f64 v[12:13], v[80:81], v[16:17], v[146:147]
	v_fma_f64 v[14:15], v[82:83], v[16:17], -v[18:19]
	v_fma_f64 v[16:17], v[84:85], v[20:21], v[149:150]
	v_fma_f64 v[18:19], v[86:87], v[20:21], -v[22:23]
	;; [unrolled: 2-line block ×4, first 2 shown]
	v_fma_f64 v[2:3], v[62:63], v[56:57], -v[171:172]
	v_lshlrev_b32_e32 v57, 4, v193
	v_fma_f64 v[28:29], v[96:97], v[32:33], v[155:156]
	v_fma_f64 v[30:31], v[98:99], v[32:33], -v[34:35]
	s_delay_alu instid0(VALU_DEP_3)
	v_lshl_add_u32 v56, v255, 4, v57
	v_fma_f64 v[32:33], v[100:101], v[36:37], v[157:158]
	v_fma_f64 v[34:35], v[102:103], v[36:37], -v[38:39]
	v_add_nc_u32_e32 v57, v57, v148
	v_fma_f64 v[36:37], v[104:105], v[40:41], v[159:160]
	v_fma_f64 v[38:39], v[106:107], v[40:41], -v[42:43]
	v_fma_f64 v[40:41], v[108:109], v[44:45], v[161:162]
	v_fma_f64 v[42:43], v[110:111], v[44:45], -v[46:47]
	;; [unrolled: 2-line block ×6, first 2 shown]
	ds_store_b128 v56, v[64:67]
	ds_store_b128 v57, v[58:61] offset:352
	ds_store_b128 v57, v[4:7] offset:704
	;; [unrolled: 1-line block ×16, first 2 shown]
.LBB0_3:
	s_or_b32 exec_lo, exec_lo, s3
	global_wb scope:SCOPE_SE
	s_wait_storecnt_dscnt 0x0
	s_wait_kmcnt 0x0
	s_barrier_signal -1
	s_barrier_wait -1
	global_inv scope:SCOPE_SE
                                        ; implicit-def: $vgpr20_vgpr21
                                        ; implicit-def: $vgpr40_vgpr41
                                        ; implicit-def: $vgpr52_vgpr53
                                        ; implicit-def: $vgpr56_vgpr57
                                        ; implicit-def: $vgpr60_vgpr61
                                        ; implicit-def: $vgpr64_vgpr65
                                        ; implicit-def: $vgpr68_vgpr69
                                        ; implicit-def: $vgpr72_vgpr73
                                        ; implicit-def: $vgpr80_vgpr81
                                        ; implicit-def: $vgpr84_vgpr85
                                        ; implicit-def: $vgpr88_vgpr89
                                        ; implicit-def: $vgpr92_vgpr93
                                        ; implicit-def: $vgpr76_vgpr77
                                        ; implicit-def: $vgpr36_vgpr37
                                        ; implicit-def: $vgpr32_vgpr33
                                        ; implicit-def: $vgpr28_vgpr29
                                        ; implicit-def: $vgpr24_vgpr25
	s_and_saveexec_b32 s2, vcc_lo
	s_cbranch_execz .LBB0_5
; %bb.4:
	v_lshl_add_u32 v0, v193, 4, v148
	ds_load_b128 v[20:23], v0
	ds_load_b128 v[40:43], v0 offset:352
	ds_load_b128 v[52:55], v0 offset:704
	;; [unrolled: 1-line block ×16, first 2 shown]
.LBB0_5:
	s_wait_alu 0xfffe
	s_or_b32 exec_lo, exec_lo, s2
	s_wait_dscnt 0x0
	v_add_f64_e64 v[128:129], v[42:43], -v[26:27]
	v_add_f64_e64 v[142:143], v[54:55], -v[30:31]
	s_mov_b32 s6, 0x5d8e7cdc
	s_mov_b32 s20, 0x2a9d6da3
	s_mov_b32 s7, 0xbfd71e95
	s_mov_b32 s21, 0xbfe58eea
	v_add_f64_e32 v[124:125], v[40:41], v[24:25]
	v_add_f64_e64 v[157:158], v[52:53], -v[28:29]
	s_mov_b32 s2, 0x370991
	s_mov_b32 s3, 0x3fedd6d0
	v_add_f64_e32 v[96:97], v[52:53], v[28:29]
	s_mov_b32 s4, 0x75d4884
	s_mov_b32 s5, 0x3fe7a5f6
	v_add_f64_e64 v[171:172], v[40:41], -v[24:25]
	v_add_f64_e32 v[165:166], v[42:43], v[26:27]
	v_add_f64_e32 v[100:101], v[54:55], v[30:31]
	v_add_f64_e64 v[163:164], v[58:59], -v[34:35]
	s_mov_b32 s30, 0x7c9e640b
	s_mov_b32 s31, 0xbfeca52d
	v_add_f64_e32 v[104:105], v[56:57], v[32:33]
	s_mov_b32 s10, 0x2b2883cd
	s_mov_b32 s11, 0x3fdc86fa
	v_add_f64_e64 v[169:170], v[56:57], -v[32:33]
	v_add_f64_e32 v[112:113], v[58:59], v[34:35]
	v_add_f64_e64 v[173:174], v[62:63], -v[38:39]
	s_mov_b32 s34, 0xeb564b22
	s_mov_b32 s35, 0xbfefdd0d
	v_add_f64_e32 v[108:109], v[60:61], v[36:37]
	s_mov_b32 s18, 0x3259b75e
	s_mov_b32 s19, 0x3fb79ee6
	v_add_f64_e64 v[175:176], v[60:61], -v[36:37]
	v_add_f64_e32 v[120:121], v[62:63], v[38:39]
	v_add_f64_e64 v[177:178], v[66:67], -v[78:79]
	s_mov_b32 s36, 0x923c349f
	s_mov_b32 s37, 0xbfeec746
	v_add_f64_e32 v[116:117], v[64:65], v[76:77]
	s_mov_b32 s22, 0xc61f0d01
	s_mov_b32 s23, 0xbfd183b1
	s_wait_alu 0xfffe
	v_mul_f64_e32 v[0:1], s[6:7], v[128:129]
	v_mul_f64_e32 v[2:3], s[20:21], v[142:143]
	v_add_f64_e64 v[179:180], v[64:65], -v[76:77]
	v_add_f64_e32 v[134:135], v[66:67], v[78:79]
	v_add_f64_e64 v[181:182], v[70:71], -v[94:95]
	s_mov_b32 s38, 0x6c9a05f6
	s_mov_b32 s39, 0xbfe9895b
	v_mul_f64_e32 v[4:5], s[20:21], v[157:158]
	v_add_f64_e32 v[130:131], v[68:69], v[92:93]
	s_mov_b32 s24, 0x6ed5f1bb
	s_mov_b32 s25, 0xbfe348c8
	v_add_f64_e64 v[183:184], v[68:69], -v[92:93]
	v_add_f64_e32 v[144:145], v[70:71], v[94:95]
	v_add_f64_e64 v[185:186], v[74:75], -v[90:91]
	s_mov_b32 s40, 0x4363dd80
	s_mov_b32 s41, 0xbfe0d888
	v_add_f64_e32 v[138:139], v[72:73], v[88:89]
	s_mov_b32 s26, 0x910ea3b9
	s_mov_b32 s27, 0xbfeb34fa
	v_add_f64_e64 v[191:192], v[72:73], -v[88:89]
	v_add_f64_e32 v[153:154], v[74:75], v[90:91]
	v_add_f64_e64 v[203:204], v[82:83], -v[86:87]
	s_mov_b32 s44, 0xacd6c6b4
	s_mov_b32 s45, 0xbfc7851a
	v_add_f64_e32 v[149:150], v[80:81], v[84:85]
	s_mov_b32 s28, 0x7faef3
	s_mov_b32 s29, 0xbfef7484
	v_add_f64_e64 v[209:210], v[80:81], -v[84:85]
	v_add_f64_e32 v[159:160], v[82:83], v[86:87]
	v_mul_f64_e32 v[114:115], s[20:21], v[128:129]
	v_mul_f64_e32 v[126:127], s[20:21], v[171:172]
	s_mov_b32 s49, 0x3fd71e95
	s_mov_b32 s48, s6
	;; [unrolled: 1-line block ×8, first 2 shown]
	s_clause 0x1
	scratch_store_b64 off, v[2:3], off offset:60
	scratch_store_b64 off, v[0:1], off offset:164
	v_fma_f64 v[0:1], v[124:125], s[2:3], v[0:1]
	v_fma_f64 v[2:3], v[96:97], s[4:5], v[2:3]
	v_mul_f64_e32 v[132:133], s[30:31], v[128:129]
	v_mul_f64_e32 v[136:137], s[30:31], v[171:172]
	scratch_store_b64 off, v[4:5], off offset:68 ; 8-byte Folded Spill
	v_fma_f64 v[4:5], v[100:101], s[4:5], -v[4:5]
	s_mov_b32 s55, 0x3fc7851a
	s_mov_b32 s54, s44
	;; [unrolled: 1-line block ×4, first 2 shown]
	v_mul_f64_e32 v[217:218], s[6:7], v[183:184]
	v_mul_f64_e32 v[140:141], s[34:35], v[128:129]
	;; [unrolled: 1-line block ×5, first 2 shown]
	s_mov_b32 s57, 0x3fe9895b
	s_mov_b32 s56, s38
	v_mul_f64_e32 v[151:152], s[36:37], v[128:129]
	v_mul_f64_e32 v[155:156], s[36:37], v[171:172]
	;; [unrolled: 1-line block ×5, first 2 shown]
	s_mov_b32 s59, 0x3fefdd0d
	s_mov_b32 s58, s34
	v_mul_f64_e32 v[219:220], s[6:7], v[191:192]
	v_mul_f64_e32 v[227:228], s[58:59], v[181:182]
	;; [unrolled: 1-line block ×14, first 2 shown]
	v_add_f64_e32 v[0:1], v[20:21], v[0:1]
	v_mul_f64_e32 v[205:206], s[42:43], v[203:204]
	v_mul_f64_e32 v[231:232], s[42:43], v[209:210]
	v_mul_f64_e32 v[187:188], s[40:41], v[128:129]
	v_mul_f64_e32 v[189:190], s[40:41], v[171:172]
	v_mul_f64_e32 v[213:214], s[42:43], v[157:158]
	v_mul_f64_e32 v[197:198], s[34:35], v[163:164]
	v_mul_f64_e32 v[239:240], s[34:35], v[169:170]
	v_mul_f64_e32 v[201:202], s[56:57], v[173:174]
	v_mul_f64_e32 v[251:252], s[56:57], v[175:176]
	v_mul_f64_e32 v[245:246], s[6:7], v[177:178]
	v_mul_f64_e32 v[110:111], s[6:7], v[179:180]
	v_mul_f64_e32 v[106:107], s[44:45], v[181:182]
	v_mul_f64_e32 v[122:123], s[44:45], v[183:184]
	v_mul_f64_e32 v[237:238], s[52:53], v[185:186]
	v_add_f64_e32 v[0:1], v[2:3], v[0:1]
	v_mul_f64_e32 v[2:3], s[6:7], v[171:172]
	v_fma_f64 v[98:99], v[100:101], s[10:11], -v[213:214]
	scratch_store_b64 off, v[2:3], off offset:252 ; 8-byte Folded Spill
	v_fma_f64 v[2:3], v[165:166], s[2:3], -v[2:3]
	s_delay_alu instid0(VALU_DEP_1) | instskip(NEXT) | instid1(VALU_DEP_1)
	v_add_f64_e32 v[2:3], v[22:23], v[2:3]
	v_add_f64_e32 v[2:3], v[4:5], v[2:3]
	v_mul_f64_e32 v[4:5], s[30:31], v[163:164]
	scratch_store_b64 off, v[4:5], off offset:84 ; 8-byte Folded Spill
	v_fma_f64 v[4:5], v[104:105], s[10:11], v[4:5]
	s_delay_alu instid0(VALU_DEP_1) | instskip(SKIP_3) | instid1(VALU_DEP_1)
	v_add_f64_e32 v[0:1], v[4:5], v[0:1]
	v_mul_f64_e32 v[4:5], s[30:31], v[169:170]
	scratch_store_b64 off, v[4:5], off offset:116 ; 8-byte Folded Spill
	v_fma_f64 v[4:5], v[112:113], s[10:11], -v[4:5]
	v_add_f64_e32 v[2:3], v[4:5], v[2:3]
	v_mul_f64_e32 v[4:5], s[34:35], v[173:174]
	scratch_store_b64 off, v[4:5], off offset:100 ; 8-byte Folded Spill
	v_fma_f64 v[4:5], v[108:109], s[18:19], v[4:5]
	s_delay_alu instid0(VALU_DEP_1) | instskip(SKIP_3) | instid1(VALU_DEP_1)
	v_add_f64_e32 v[0:1], v[4:5], v[0:1]
	v_mul_f64_e32 v[4:5], s[34:35], v[175:176]
	scratch_store_b64 off, v[4:5], off offset:148 ; 8-byte Folded Spill
	v_fma_f64 v[4:5], v[120:121], s[18:19], -v[4:5]
	;; [unrolled: 9-line block ×6, first 2 shown]
	v_add_f64_e32 v[2:3], v[4:5], v[2:3]
	v_fma_f64 v[4:5], v[124:125], s[4:5], v[114:115]
	scratch_store_b128 off, v[0:3], off offset:12 ; 16-byte Folded Spill
	v_mul_f64_e32 v[0:1], s[34:35], v[142:143]
	v_add_f64_e32 v[4:5], v[20:21], v[4:5]
	v_mul_f64_e32 v[2:3], s[48:49], v[209:210]
	s_delay_alu instid0(VALU_DEP_3)
	v_fma_f64 v[6:7], v[96:97], s[18:19], v[0:1]
	s_clause 0x1
	scratch_store_b64 off, v[0:1], off offset:268
	scratch_store_b64 off, v[2:3], off offset:412
	v_mul_f64_e32 v[0:1], s[34:35], v[157:158]
	v_add_f64_e32 v[4:5], v[6:7], v[4:5]
	v_fma_f64 v[6:7], v[165:166], s[4:5], -v[126:127]
	scratch_store_b64 off, v[0:1], off offset:324 ; 8-byte Folded Spill
	v_fma_f64 v[8:9], v[100:101], s[18:19], -v[0:1]
	v_mul_f64_e32 v[0:1], s[38:39], v[163:164]
	v_add_f64_e32 v[6:7], v[22:23], v[6:7]
	scratch_store_b64 off, v[0:1], off offset:284 ; 8-byte Folded Spill
	v_add_f64_e32 v[6:7], v[8:9], v[6:7]
	v_fma_f64 v[8:9], v[104:105], s[24:25], v[0:1]
	v_mul_f64_e32 v[0:1], s[38:39], v[169:170]
	s_delay_alu instid0(VALU_DEP_2) | instskip(SKIP_3) | instid1(VALU_DEP_2)
	v_add_f64_e32 v[4:5], v[8:9], v[4:5]
	scratch_store_b64 off, v[0:1], off offset:332 ; 8-byte Folded Spill
	v_fma_f64 v[8:9], v[112:113], s[24:25], -v[0:1]
	v_mul_f64_e32 v[0:1], s[44:45], v[173:174]
	v_add_f64_e32 v[6:7], v[8:9], v[6:7]
	scratch_store_b64 off, v[0:1], off offset:308 ; 8-byte Folded Spill
	v_fma_f64 v[8:9], v[108:109], s[28:29], v[0:1]
	v_mul_f64_e32 v[0:1], s[44:45], v[175:176]
	s_delay_alu instid0(VALU_DEP_2) | instskip(SKIP_3) | instid1(VALU_DEP_2)
	v_add_f64_e32 v[4:5], v[8:9], v[4:5]
	scratch_store_b64 off, v[0:1], off offset:356 ; 8-byte Folded Spill
	v_fma_f64 v[8:9], v[120:121], s[28:29], -v[0:1]
	v_mul_f64_e32 v[0:1], s[50:51], v[177:178]
	v_add_f64_e32 v[6:7], v[8:9], v[6:7]
	scratch_store_b64 off, v[0:1], off offset:340 ; 8-byte Folded Spill
	;; [unrolled: 9-line block ×4, first 2 shown]
	v_fma_f64 v[8:9], v[138:139], s[10:11], v[0:1]
	v_mul_f64_e32 v[0:1], s[42:43], v[191:192]
	s_delay_alu instid0(VALU_DEP_2) | instskip(SKIP_3) | instid1(VALU_DEP_2)
	v_add_f64_e32 v[4:5], v[8:9], v[4:5]
	scratch_store_b64 off, v[0:1], off offset:388 ; 8-byte Folded Spill
	v_fma_f64 v[8:9], v[153:154], s[10:11], -v[0:1]
	v_mul_f64_e32 v[0:1], s[48:49], v[203:204]
	v_add_f64_e32 v[6:7], v[8:9], v[6:7]
	s_delay_alu instid0(VALU_DEP_2) | instskip(SKIP_4) | instid1(VALU_DEP_2)
	v_fma_f64 v[8:9], v[149:150], s[2:3], v[0:1]
	scratch_store_b64 off, v[0:1], off offset:364 ; 8-byte Folded Spill
	v_add_f64_e32 v[0:1], v[8:9], v[4:5]
	v_fma_f64 v[8:9], v[159:160], s[2:3], -v[2:3]
	v_mul_f64_e32 v[4:5], s[38:39], v[142:143]
	v_add_f64_e32 v[2:3], v[8:9], v[6:7]
	v_fma_f64 v[8:9], v[124:125], s[10:11], v[132:133]
	s_delay_alu instid0(VALU_DEP_3)
	v_fma_f64 v[10:11], v[96:97], s[24:25], v[4:5]
	v_mul_f64_e32 v[6:7], s[54:55], v[163:164]
	scratch_store_b128 off, v[0:3], off offset:28 ; 16-byte Folded Spill
	v_add_f64_e32 v[8:9], v[20:21], v[8:9]
	v_mul_f64_e32 v[0:1], s[38:39], v[157:158]
	v_mul_f64_e32 v[2:3], s[40:41], v[209:210]
	s_delay_alu instid0(VALU_DEP_3) | instskip(SKIP_1) | instid1(VALU_DEP_4)
	v_add_f64_e32 v[8:9], v[10:11], v[8:9]
	v_fma_f64 v[10:11], v[165:166], s[10:11], -v[136:137]
	v_fma_f64 v[12:13], v[100:101], s[24:25], -v[0:1]
	scratch_store_b64 off, v[0:1], off offset:404 ; 8-byte Folded Spill
	v_mul_f64_e32 v[0:1], s[54:55], v[169:170]
	scratch_store_b64 off, v[2:3], off offset:516 ; 8-byte Folded Spill
	v_add_f64_e32 v[10:11], v[22:23], v[10:11]
	scratch_store_b64 off, v[0:1], off offset:428 ; 8-byte Folded Spill
	v_add_f64_e32 v[10:11], v[12:13], v[10:11]
	v_fma_f64 v[12:13], v[104:105], s[28:29], v[6:7]
	s_delay_alu instid0(VALU_DEP_1) | instskip(SKIP_2) | instid1(VALU_DEP_2)
	v_add_f64_e32 v[8:9], v[12:13], v[8:9]
	v_fma_f64 v[12:13], v[112:113], s[28:29], -v[0:1]
	v_mul_f64_e32 v[0:1], s[46:47], v[173:174]
	v_add_f64_e32 v[10:11], v[12:13], v[10:11]
	scratch_store_b64 off, v[0:1], off offset:396 ; 8-byte Folded Spill
	v_fma_f64 v[12:13], v[108:109], s[22:23], v[0:1]
	v_mul_f64_e32 v[0:1], s[46:47], v[175:176]
	s_delay_alu instid0(VALU_DEP_2) | instskip(SKIP_3) | instid1(VALU_DEP_2)
	v_add_f64_e32 v[8:9], v[12:13], v[8:9]
	scratch_store_b64 off, v[0:1], off offset:484 ; 8-byte Folded Spill
	v_fma_f64 v[12:13], v[120:121], s[22:23], -v[0:1]
	v_mul_f64_e32 v[0:1], s[52:53], v[177:178]
	v_add_f64_e32 v[10:11], v[12:13], v[10:11]
	scratch_store_b64 off, v[0:1], off offset:476 ; 8-byte Folded Spill
	v_fma_f64 v[12:13], v[116:117], s[4:5], v[0:1]
	v_mul_f64_e32 v[0:1], s[52:53], v[179:180]
	s_delay_alu instid0(VALU_DEP_2) | instskip(SKIP_3) | instid1(VALU_DEP_2)
	v_add_f64_e32 v[8:9], v[12:13], v[8:9]
	scratch_store_b64 off, v[0:1], off offset:604 ; 8-byte Folded Spill
	v_fma_f64 v[12:13], v[134:135], s[4:5], -v[0:1]
	v_mul_f64_e32 v[0:1], s[6:7], v[181:182]
	v_add_f64_e32 v[10:11], v[12:13], v[10:11]
	s_delay_alu instid0(VALU_DEP_2)
	v_fma_f64 v[12:13], v[130:131], s[2:3], v[0:1]
	scratch_store_b64 off, v[0:1], off offset:572 ; 8-byte Folded Spill
	v_mul_f64_e32 v[0:1], s[34:35], v[185:186]
	v_add_f64_e32 v[8:9], v[12:13], v[8:9]
	v_fma_f64 v[12:13], v[144:145], s[2:3], -v[217:218]
	scratch_store_b64 off, v[0:1], off offset:468 ; 8-byte Folded Spill
	v_add_f64_e32 v[10:11], v[12:13], v[10:11]
	v_fma_f64 v[12:13], v[138:139], s[18:19], v[0:1]
	v_mul_f64_e32 v[0:1], s[34:35], v[191:192]
	s_delay_alu instid0(VALU_DEP_2) | instskip(SKIP_3) | instid1(VALU_DEP_2)
	v_add_f64_e32 v[8:9], v[12:13], v[8:9]
	scratch_store_b64 off, v[0:1], off offset:524 ; 8-byte Folded Spill
	v_fma_f64 v[12:13], v[153:154], s[18:19], -v[0:1]
	v_mul_f64_e32 v[0:1], s[40:41], v[203:204]
	v_add_f64_e32 v[10:11], v[12:13], v[10:11]
	s_delay_alu instid0(VALU_DEP_2) | instskip(SKIP_4) | instid1(VALU_DEP_2)
	v_fma_f64 v[12:13], v[149:150], s[26:27], v[0:1]
	scratch_store_b64 off, v[0:1], off offset:452 ; 8-byte Folded Spill
	v_add_f64_e32 v[0:1], v[12:13], v[8:9]
	v_fma_f64 v[12:13], v[159:160], s[26:27], -v[2:3]
	v_mul_f64_e32 v[8:9], s[46:47], v[163:164]
	v_add_f64_e32 v[2:3], v[12:13], v[10:11]
	v_fma_f64 v[12:13], v[124:125], s[18:19], v[140:141]
	scratch_store_b128 off, v[0:3], off offset:44 ; 16-byte Folded Spill
	v_mul_f64_e32 v[2:3], s[44:45], v[142:143]
	v_add_f64_e32 v[12:13], v[20:21], v[12:13]
	v_mul_f64_e32 v[0:1], s[44:45], v[157:158]
	s_delay_alu instid0(VALU_DEP_3) | instskip(NEXT) | instid1(VALU_DEP_2)
	v_fma_f64 v[14:15], v[96:97], s[28:29], v[2:3]
	v_fma_f64 v[16:17], v[100:101], s[28:29], -v[0:1]
	scratch_store_b64 off, v[0:1], off offset:460 ; 8-byte Folded Spill
	v_mul_f64_e32 v[0:1], s[46:47], v[169:170]
	v_add_f64_e32 v[12:13], v[14:15], v[12:13]
	v_fma_f64 v[14:15], v[165:166], s[18:19], -v[146:147]
	scratch_store_b64 off, v[0:1], off offset:540 ; 8-byte Folded Spill
	v_add_f64_e32 v[14:15], v[22:23], v[14:15]
	s_delay_alu instid0(VALU_DEP_1) | instskip(SKIP_1) | instid1(VALU_DEP_1)
	v_add_f64_e32 v[14:15], v[16:17], v[14:15]
	v_fma_f64 v[16:17], v[104:105], s[22:23], v[8:9]
	v_add_f64_e32 v[12:13], v[16:17], v[12:13]
	v_fma_f64 v[16:17], v[112:113], s[22:23], -v[0:1]
	v_mul_f64_e32 v[0:1], s[48:49], v[173:174]
	s_delay_alu instid0(VALU_DEP_2) | instskip(SKIP_3) | instid1(VALU_DEP_2)
	v_add_f64_e32 v[14:15], v[16:17], v[14:15]
	scratch_store_b64 off, v[0:1], off offset:444 ; 8-byte Folded Spill
	v_fma_f64 v[16:17], v[108:109], s[2:3], v[0:1]
	v_mul_f64_e32 v[0:1], s[48:49], v[175:176]
	v_add_f64_e32 v[12:13], v[16:17], v[12:13]
	scratch_store_b64 off, v[0:1], off offset:620 ; 8-byte Folded Spill
	v_fma_f64 v[16:17], v[120:121], s[2:3], -v[0:1]
	v_mul_f64_e32 v[0:1], s[30:31], v[177:178]
	s_delay_alu instid0(VALU_DEP_2) | instskip(NEXT) | instid1(VALU_DEP_2)
	v_add_f64_e32 v[14:15], v[16:17], v[14:15]
	v_fma_f64 v[16:17], v[116:117], s[10:11], v[0:1]
	scratch_store_b64 off, v[0:1], off offset:564 ; 8-byte Folded Spill
	v_mul_f64_e32 v[0:1], s[40:41], v[181:182]
	v_add_f64_e32 v[12:13], v[16:17], v[12:13]
	v_fma_f64 v[16:17], v[134:135], s[10:11], -v[207:208]
	scratch_store_b64 off, v[0:1], off offset:668 ; 8-byte Folded Spill
	v_add_f64_e32 v[14:15], v[16:17], v[14:15]
	v_fma_f64 v[16:17], v[130:131], s[26:27], v[0:1]
	v_mul_f64_e32 v[0:1], s[56:57], v[185:186]
	s_delay_alu instid0(VALU_DEP_2)
	v_add_f64_e32 v[12:13], v[16:17], v[12:13]
	v_fma_f64 v[16:17], v[144:145], s[26:27], -v[233:234]
	scratch_store_b64 off, v[0:1], off offset:556 ; 8-byte Folded Spill
	v_add_f64_e32 v[14:15], v[16:17], v[14:15]
	v_fma_f64 v[16:17], v[138:139], s[24:25], v[0:1]
	v_mul_f64_e32 v[0:1], s[56:57], v[191:192]
	s_delay_alu instid0(VALU_DEP_2) | instskip(SKIP_3) | instid1(VALU_DEP_2)
	v_add_f64_e32 v[12:13], v[16:17], v[12:13]
	scratch_store_b64 off, v[0:1], off offset:628 ; 8-byte Folded Spill
	v_fma_f64 v[16:17], v[153:154], s[24:25], -v[0:1]
	v_mul_f64_e32 v[0:1], s[52:53], v[203:204]
	v_add_f64_e32 v[14:15], v[16:17], v[14:15]
	scratch_store_b64 off, v[0:1], off offset:532 ; 8-byte Folded Spill
	v_fma_f64 v[16:17], v[149:150], s[4:5], v[0:1]
	v_mul_f64_e32 v[0:1], s[52:53], v[209:210]
	s_delay_alu instid0(VALU_DEP_2) | instskip(NEXT) | instid1(VALU_DEP_2)
	v_add_f64_e32 v[11:12], v[16:17], v[12:13]
	v_fma_f64 v[16:17], v[159:160], s[4:5], -v[0:1]
	scratch_store_b64 off, v[0:1], off offset:612 ; 8-byte Folded Spill
	v_mul_f64_e32 v[0:1], s[50:51], v[142:143]
	v_add_f64_e32 v[13:14], v[16:17], v[14:15]
	v_fma_f64 v[16:17], v[124:125], s[22:23], v[151:152]
	s_delay_alu instid0(VALU_DEP_3)
	v_fma_f64 v[18:19], v[96:97], s[26:27], v[0:1]
	scratch_store_b64 off, v[0:1], off offset:436 ; 8-byte Folded Spill
	v_mul_f64_e32 v[0:1], s[50:51], v[157:158]
	v_add_f64_e32 v[16:17], v[20:21], v[16:17]
	scratch_store_b64 off, v[0:1], off offset:548 ; 8-byte Folded Spill
	v_fma_f64 v[44:45], v[100:101], s[26:27], -v[0:1]
	v_mul_f64_e32 v[0:1], s[52:53], v[163:164]
	v_add_f64_e32 v[16:17], v[18:19], v[16:17]
	v_fma_f64 v[18:19], v[165:166], s[22:23], -v[155:156]
	scratch_store_b64 off, v[0:1], off offset:492 ; 8-byte Folded Spill
	v_add_f64_e32 v[18:19], v[22:23], v[18:19]
	s_delay_alu instid0(VALU_DEP_1) | instskip(SKIP_2) | instid1(VALU_DEP_2)
	v_add_f64_e32 v[18:19], v[44:45], v[18:19]
	v_fma_f64 v[44:45], v[104:105], s[4:5], v[0:1]
	v_mul_f64_e32 v[0:1], s[52:53], v[169:170]
	v_add_f64_e32 v[16:17], v[44:45], v[16:17]
	scratch_store_b64 off, v[0:1], off offset:644 ; 8-byte Folded Spill
	v_fma_f64 v[44:45], v[112:113], s[4:5], -v[0:1]
	v_mul_f64_e32 v[0:1], s[30:31], v[173:174]
	s_delay_alu instid0(VALU_DEP_2) | instskip(NEXT) | instid1(VALU_DEP_2)
	v_add_f64_e32 v[18:19], v[44:45], v[18:19]
	v_fma_f64 v[44:45], v[108:109], s[10:11], v[0:1]
	scratch_store_b64 off, v[0:1], off offset:508 ; 8-byte Folded Spill
	v_mul_f64_e32 v[0:1], s[6:7], v[185:186]
	v_add_f64_e32 v[16:17], v[44:45], v[16:17]
	v_fma_f64 v[44:45], v[120:121], s[10:11], -v[215:216]
	scratch_store_b64 off, v[0:1], off offset:660 ; 8-byte Folded Spill
	v_add_f64_e32 v[18:19], v[44:45], v[18:19]
	v_fma_f64 v[44:45], v[116:117], s[28:29], v[199:200]
	s_delay_alu instid0(VALU_DEP_1) | instskip(SKIP_1) | instid1(VALU_DEP_1)
	v_add_f64_e32 v[16:17], v[44:45], v[16:17]
	v_fma_f64 v[44:45], v[134:135], s[28:29], -v[241:242]
	v_add_f64_e32 v[18:19], v[44:45], v[18:19]
	v_fma_f64 v[44:45], v[130:131], s[18:19], v[227:228]
	s_delay_alu instid0(VALU_DEP_1) | instskip(SKIP_1) | instid1(VALU_DEP_1)
	v_add_f64_e32 v[16:17], v[44:45], v[16:17]
	v_fma_f64 v[44:45], v[144:145], s[18:19], -v[102:103]
	v_add_f64_e32 v[18:19], v[44:45], v[18:19]
	v_fma_f64 v[44:45], v[138:139], s[2:3], v[0:1]
	v_mul_f64_e32 v[0:1], s[38:39], v[203:204]
	s_delay_alu instid0(VALU_DEP_2)
	v_add_f64_e32 v[16:17], v[44:45], v[16:17]
	v_fma_f64 v[44:45], v[153:154], s[2:3], -v[219:220]
	scratch_store_b64 off, v[0:1], off offset:636 ; 8-byte Folded Spill
	v_add_f64_e32 v[18:19], v[44:45], v[18:19]
	v_fma_f64 v[44:45], v[149:150], s[24:25], v[0:1]
	v_mul_f64_e32 v[0:1], s[46:47], v[142:143]
	s_delay_alu instid0(VALU_DEP_2) | instskip(SKIP_1) | instid1(VALU_DEP_3)
	v_add_f64_e32 v[16:17], v[44:45], v[16:17]
	v_fma_f64 v[44:45], v[159:160], s[24:25], -v[211:212]
	v_fma_f64 v[46:47], v[96:97], s[22:23], v[0:1]
	scratch_store_b64 off, v[0:1], off offset:500 ; 8-byte Folded Spill
	v_mul_f64_e32 v[0:1], s[46:47], v[157:158]
	v_add_f64_e32 v[18:19], v[44:45], v[18:19]
	v_fma_f64 v[44:45], v[124:125], s[24:25], v[161:162]
	scratch_store_b64 off, v[0:1], off offset:652 ; 8-byte Folded Spill
	v_fma_f64 v[48:49], v[100:101], s[22:23], -v[0:1]
	v_mul_f64_e32 v[0:1], s[6:7], v[163:164]
	v_add_f64_e32 v[44:45], v[20:21], v[44:45]
	scratch_store_b64 off, v[0:1], off offset:588 ; 8-byte Folded Spill
	v_add_f64_e32 v[44:45], v[46:47], v[44:45]
	v_fma_f64 v[46:47], v[165:166], s[24:25], -v[167:168]
	s_delay_alu instid0(VALU_DEP_1) | instskip(NEXT) | instid1(VALU_DEP_1)
	v_add_f64_e32 v[46:47], v[22:23], v[46:47]
	v_add_f64_e32 v[46:47], v[48:49], v[46:47]
	v_fma_f64 v[48:49], v[104:105], s[2:3], v[0:1]
	v_mul_f64_e32 v[0:1], s[40:41], v[173:174]
	s_delay_alu instid0(VALU_DEP_2)
	v_add_f64_e32 v[44:45], v[48:49], v[44:45]
	v_fma_f64 v[48:49], v[112:113], s[2:3], -v[223:224]
	scratch_store_b64 off, v[0:1], off offset:596 ; 8-byte Folded Spill
	v_add_f64_e32 v[46:47], v[48:49], v[46:47]
	v_fma_f64 v[48:49], v[108:109], s[26:27], v[0:1]
	v_mul_f64_e32 v[0:1], s[42:43], v[142:143]
	s_delay_alu instid0(VALU_DEP_2)
	v_add_f64_e32 v[44:45], v[48:49], v[44:45]
	v_fma_f64 v[48:49], v[120:121], s[26:27], -v[243:244]
	scratch_store_b64 off, v[0:1], off offset:580 ; 8-byte Folded Spill
	s_clause 0x1
	s_load_b64 s[16:17], s[0:1], 0x20
	s_load_b64 s[8:9], s[0:1], 0x8
	global_wb scope:SCOPE_SE
	s_wait_storecnt 0x0
	s_wait_kmcnt 0x0
	s_barrier_signal -1
	s_barrier_wait -1
	global_inv scope:SCOPE_SE
	v_add_f64_e32 v[46:47], v[48:49], v[46:47]
	v_fma_f64 v[48:49], v[116:117], s[18:19], v[225:226]
	s_delay_alu instid0(VALU_DEP_1) | instskip(SKIP_1) | instid1(VALU_DEP_1)
	v_add_f64_e32 v[44:45], v[48:49], v[44:45]
	v_fma_f64 v[48:49], v[134:135], s[18:19], -v[253:254]
	v_add_f64_e32 v[46:47], v[48:49], v[46:47]
	v_fma_f64 v[48:49], v[130:131], s[4:5], v[247:248]
	s_delay_alu instid0(VALU_DEP_1) | instskip(SKIP_1) | instid1(VALU_DEP_1)
	v_add_f64_e32 v[44:45], v[48:49], v[44:45]
	v_fma_f64 v[48:49], v[144:145], s[4:5], -v[118:119]
	;; [unrolled: 5-line block ×4, first 2 shown]
	v_add_f64_e32 v[50:51], v[44:45], v[46:47]
	v_fma_f64 v[44:45], v[124:125], s[26:27], v[187:188]
	v_fma_f64 v[46:47], v[96:97], s[10:11], v[0:1]
	v_mul_lo_u16 v0, v255, 17
	scratch_store_b32 off, v0, off offset:304 ; 4-byte Folded Spill
	v_add_f64_e32 v[44:45], v[20:21], v[44:45]
	s_delay_alu instid0(VALU_DEP_1) | instskip(SKIP_1) | instid1(VALU_DEP_1)
	v_add_f64_e32 v[44:45], v[46:47], v[44:45]
	v_fma_f64 v[46:47], v[165:166], s[26:27], -v[189:190]
	v_add_f64_e32 v[46:47], v[22:23], v[46:47]
	s_delay_alu instid0(VALU_DEP_1) | instskip(SKIP_1) | instid1(VALU_DEP_1)
	v_add_f64_e32 v[46:47], v[98:99], v[46:47]
	v_fma_f64 v[98:99], v[104:105], s[18:19], v[197:198]
	v_add_f64_e32 v[44:45], v[98:99], v[44:45]
	v_fma_f64 v[98:99], v[112:113], s[18:19], -v[239:240]
	s_delay_alu instid0(VALU_DEP_1) | instskip(SKIP_1) | instid1(VALU_DEP_1)
	v_add_f64_e32 v[46:47], v[98:99], v[46:47]
	v_fma_f64 v[98:99], v[108:109], s[24:25], v[201:202]
	v_add_f64_e32 v[44:45], v[98:99], v[44:45]
	v_fma_f64 v[98:99], v[120:121], s[24:25], -v[251:252]
	;; [unrolled: 5-line block ×4, first 2 shown]
	s_delay_alu instid0(VALU_DEP_1) | instskip(SKIP_1) | instid1(VALU_DEP_1)
	v_add_f64_e32 v[46:47], v[98:99], v[46:47]
	v_fma_f64 v[98:99], v[138:139], s[4:5], v[237:238]
	v_add_f64_e32 v[44:45], v[98:99], v[44:45]
	v_mul_f64_e32 v[98:99], s[52:53], v[191:192]
	s_delay_alu instid0(VALU_DEP_1) | instskip(NEXT) | instid1(VALU_DEP_1)
	v_fma_f64 v[229:230], v[153:154], s[4:5], -v[98:99]
	v_add_f64_e32 v[46:47], v[229:230], v[46:47]
	v_mul_f64_e32 v[229:230], s[36:37], v[203:204]
	s_delay_alu instid0(VALU_DEP_1) | instskip(NEXT) | instid1(VALU_DEP_1)
	v_fma_f64 v[249:250], v[149:150], s[22:23], v[229:230]
	v_add_f64_e32 v[44:45], v[249:250], v[44:45]
	v_mul_f64_e32 v[249:250], s[36:37], v[209:210]
	s_delay_alu instid0(VALU_DEP_1) | instskip(NEXT) | instid1(VALU_DEP_1)
	v_fma_f64 v[194:195], v[159:160], s[22:23], -v[249:250]
	v_add_f64_e32 v[46:47], v[194:195], v[46:47]
	s_and_saveexec_b32 s0, vcc_lo
	s_cbranch_execz .LBB0_7
; %bb.6:
	scratch_load_b64 v[0:1], off, off offset:252 th:TH_LOAD_LU ; 8-byte Folded Reload
	v_add_f64_e32 v[40:41], v[20:21], v[40:41]
	v_add_f64_e32 v[42:43], v[22:23], v[42:43]
	s_delay_alu instid0(VALU_DEP_2) | instskip(NEXT) | instid1(VALU_DEP_2)
	v_add_f64_e32 v[40:41], v[40:41], v[52:53]
	v_add_f64_e32 v[42:43], v[42:43], v[54:55]
	v_mul_f64_e32 v[52:53], s[18:19], v[165:166]
	v_mul_f64_e32 v[54:55], s[18:19], v[124:125]
	s_delay_alu instid0(VALU_DEP_4) | instskip(NEXT) | instid1(VALU_DEP_4)
	v_add_f64_e32 v[40:41], v[40:41], v[56:57]
	v_add_f64_e32 v[42:43], v[42:43], v[58:59]
	s_delay_alu instid0(VALU_DEP_4)
	v_add_f64_e32 v[52:53], v[146:147], v[52:53]
	v_mul_f64_e32 v[58:59], s[10:11], v[124:125]
	v_add_f64_e64 v[54:55], v[54:55], -v[140:141]
	v_mul_f64_e32 v[56:57], s[10:11], v[165:166]
	v_add_f64_e32 v[40:41], v[40:41], v[60:61]
	v_add_f64_e32 v[42:43], v[42:43], v[62:63]
	v_mul_f64_e32 v[62:63], s[4:5], v[124:125]
	v_add_f64_e64 v[58:59], v[58:59], -v[132:133]
	v_mul_f64_e32 v[60:61], s[4:5], v[165:166]
	v_add_f64_e32 v[56:57], v[136:137], v[56:57]
	v_add_f64_e32 v[40:41], v[40:41], v[64:65]
	;; [unrolled: 1-line block ×3, first 2 shown]
	v_mul_f64_e32 v[64:65], s[2:3], v[165:166]
	v_mul_f64_e32 v[66:67], s[44:45], v[128:129]
	v_add_f64_e64 v[62:63], v[62:63], -v[114:115]
	v_add_f64_e32 v[60:61], v[126:127], v[60:61]
	v_mul_f64_e32 v[114:115], s[18:19], v[159:160]
	v_add_f64_e32 v[40:41], v[40:41], v[68:69]
	v_add_f64_e32 v[42:43], v[42:43], v[70:71]
	v_mul_f64_e32 v[70:71], s[2:3], v[124:125]
	v_fma_f64 v[68:69], v[124:125], s[28:29], v[66:67]
	v_fma_f64 v[66:67], v[124:125], s[28:29], -v[66:67]
	v_add_f64_e32 v[40:41], v[40:41], v[72:73]
	v_add_f64_e32 v[42:43], v[42:43], v[74:75]
	s_delay_alu instid0(VALU_DEP_4) | instskip(NEXT) | instid1(VALU_DEP_4)
	v_add_f64_e32 v[68:69], v[20:21], v[68:69]
	v_add_f64_e32 v[66:67], v[20:21], v[66:67]
	s_delay_alu instid0(VALU_DEP_4) | instskip(NEXT) | instid1(VALU_DEP_4)
	v_add_f64_e32 v[40:41], v[40:41], v[80:81]
	v_add_f64_e32 v[42:43], v[42:43], v[82:83]
	s_delay_alu instid0(VALU_DEP_2) | instskip(NEXT) | instid1(VALU_DEP_2)
	v_add_f64_e32 v[40:41], v[40:41], v[84:85]
	v_add_f64_e32 v[42:43], v[42:43], v[86:87]
	s_wait_loadcnt 0x0
	v_add_f64_e32 v[64:65], v[0:1], v[64:65]
	scratch_load_b64 v[0:1], off, off offset:164 th:TH_LOAD_LU ; 8-byte Folded Reload
	v_add_f64_e32 v[40:41], v[40:41], v[88:89]
	v_add_f64_e32 v[42:43], v[42:43], v[90:91]
	;; [unrolled: 1-line block ×3, first 2 shown]
	s_delay_alu instid0(VALU_DEP_3) | instskip(NEXT) | instid1(VALU_DEP_3)
	v_add_f64_e32 v[40:41], v[40:41], v[92:93]
	v_add_f64_e32 v[42:43], v[42:43], v[94:95]
	v_mul_f64_e32 v[94:95], s[58:59], v[203:204]
	s_delay_alu instid0(VALU_DEP_3) | instskip(NEXT) | instid1(VALU_DEP_3)
	v_add_f64_e32 v[40:41], v[40:41], v[76:77]
	v_add_f64_e32 v[42:43], v[42:43], v[78:79]
	s_delay_alu instid0(VALU_DEP_2) | instskip(NEXT) | instid1(VALU_DEP_2)
	v_add_f64_e32 v[36:37], v[40:41], v[36:37]
	v_add_f64_e32 v[38:39], v[42:43], v[38:39]
	v_mul_f64_e32 v[40:41], s[22:23], v[165:166]
	v_mul_f64_e32 v[42:43], s[22:23], v[124:125]
	s_delay_alu instid0(VALU_DEP_4) | instskip(NEXT) | instid1(VALU_DEP_4)
	v_add_f64_e32 v[32:33], v[36:37], v[32:33]
	v_add_f64_e32 v[34:35], v[38:39], v[34:35]
	v_mul_f64_e32 v[38:39], s[24:25], v[124:125]
	v_add_f64_e32 v[40:41], v[155:156], v[40:41]
	v_mul_f64_e32 v[36:37], s[24:25], v[165:166]
	v_add_f64_e64 v[42:43], v[42:43], -v[151:152]
	v_add_f64_e32 v[28:29], v[32:33], v[28:29]
	v_add_f64_e32 v[30:31], v[34:35], v[30:31]
	v_mul_f64_e32 v[34:35], s[26:27], v[124:125]
	v_add_f64_e64 v[38:39], v[38:39], -v[161:162]
	v_add_f64_e32 v[80:81], v[22:23], v[40:41]
	v_add_f64_e32 v[40:41], v[22:23], v[52:53]
	v_mul_f64_e32 v[52:53], s[2:3], v[100:101]
	v_mul_f64_e32 v[32:33], s[26:27], v[165:166]
	v_add_f64_e32 v[36:37], v[167:168], v[36:37]
	v_add_f64_e32 v[82:83], v[20:21], v[42:43]
	;; [unrolled: 1-line block ×3, first 2 shown]
	v_mul_f64_e32 v[54:55], s[26:27], v[112:113]
	v_add_f64_e32 v[24:25], v[28:29], v[24:25]
	v_mul_f64_e32 v[28:29], s[28:29], v[165:166]
	v_add_f64_e32 v[26:27], v[30:31], v[26:27]
	v_add_f64_e64 v[34:35], v[34:35], -v[187:188]
	v_add_f64_e32 v[78:79], v[20:21], v[38:39]
	v_add_f64_e32 v[38:39], v[20:21], v[58:59]
	;; [unrolled: 1-line block ×5, first 2 shown]
	v_fma_f64 v[56:57], v[169:170], s[50:51], v[54:55]
	v_fma_f64 v[54:55], v[169:170], s[40:41], v[54:55]
	;; [unrolled: 1-line block ×4, first 2 shown]
	v_add_f64_e32 v[74:75], v[20:21], v[34:35]
	v_add_f64_e32 v[34:35], v[20:21], v[62:63]
	;; [unrolled: 1-line block ×4, first 2 shown]
	s_wait_loadcnt 0x0
	v_add_f64_e64 v[70:71], v[70:71], -v[0:1]
	scratch_load_b64 v[0:1], off, off offset:420 th:TH_LOAD_LU ; 8-byte Folded Reload
	v_add_f64_e32 v[30:31], v[22:23], v[30:31]
	v_add_f64_e32 v[28:29], v[22:23], v[28:29]
	;; [unrolled: 1-line block ×3, first 2 shown]
	v_fma_f64 v[20:21], v[157:158], s[6:7], v[52:53]
	v_fma_f64 v[52:53], v[157:158], s[48:49], v[52:53]
	s_delay_alu instid0(VALU_DEP_2) | instskip(SKIP_1) | instid1(VALU_DEP_3)
	v_add_f64_e32 v[20:21], v[20:21], v[30:31]
	v_mul_f64_e32 v[30:31], s[48:49], v[142:143]
	v_add_f64_e32 v[28:29], v[52:53], v[28:29]
	s_delay_alu instid0(VALU_DEP_3) | instskip(NEXT) | instid1(VALU_DEP_3)
	v_add_f64_e32 v[20:21], v[56:57], v[20:21]
	v_fma_f64 v[22:23], v[96:97], s[2:3], v[30:31]
	v_mul_f64_e32 v[56:57], s[40:41], v[163:164]
	v_fma_f64 v[30:31], v[96:97], s[2:3], -v[30:31]
	v_add_f64_e32 v[28:29], v[54:55], v[28:29]
	v_fma_f64 v[54:55], v[149:150], s[18:19], -v[94:95]
	v_add_f64_e32 v[22:23], v[22:23], v[68:69]
	v_fma_f64 v[58:59], v[104:105], s[26:27], v[56:57]
	v_add_f64_e32 v[30:31], v[30:31], v[66:67]
	v_fma_f64 v[52:53], v[104:105], s[26:27], -v[56:57]
	v_mul_f64_e32 v[56:57], s[28:29], v[120:121]
	v_mul_f64_e32 v[66:67], s[26:27], v[116:117]
	v_add_f64_e32 v[22:23], v[58:59], v[22:23]
	v_mul_f64_e32 v[58:59], s[4:5], v[120:121]
	v_add_f64_e32 v[30:31], v[52:53], v[30:31]
	s_delay_alu instid0(VALU_DEP_2) | instskip(SKIP_1) | instid1(VALU_DEP_2)
	v_fma_f64 v[60:61], v[175:176], s[20:21], v[58:59]
	v_fma_f64 v[58:59], v[175:176], s[52:53], v[58:59]
	v_add_f64_e32 v[20:21], v[60:61], v[20:21]
	v_mul_f64_e32 v[60:61], s[52:53], v[173:174]
	s_delay_alu instid0(VALU_DEP_3) | instskip(SKIP_1) | instid1(VALU_DEP_3)
	v_add_f64_e32 v[28:29], v[58:59], v[28:29]
	v_mul_f64_e32 v[58:59], s[24:25], v[112:113]
	v_fma_f64 v[62:63], v[108:109], s[4:5], v[60:61]
	v_fma_f64 v[52:53], v[108:109], s[4:5], -v[60:61]
	v_mul_f64_e32 v[60:61], s[18:19], v[100:101]
	s_delay_alu instid0(VALU_DEP_3) | instskip(SKIP_1) | instid1(VALU_DEP_4)
	v_add_f64_e32 v[22:23], v[62:63], v[22:23]
	v_mul_f64_e32 v[62:63], s[24:25], v[134:135]
	v_add_f64_e32 v[30:31], v[52:53], v[30:31]
	s_delay_alu instid0(VALU_DEP_2) | instskip(SKIP_1) | instid1(VALU_DEP_2)
	v_fma_f64 v[68:69], v[179:180], s[56:57], v[62:63]
	v_fma_f64 v[62:63], v[179:180], s[38:39], v[62:63]
	v_add_f64_e32 v[20:21], v[68:69], v[20:21]
	v_mul_f64_e32 v[68:69], s[38:39], v[177:178]
	s_delay_alu instid0(VALU_DEP_3) | instskip(SKIP_1) | instid1(VALU_DEP_3)
	v_add_f64_e32 v[28:29], v[62:63], v[28:29]
	v_mul_f64_e32 v[62:63], s[22:23], v[130:131]
	v_fma_f64 v[84:85], v[116:117], s[24:25], v[68:69]
	v_fma_f64 v[52:53], v[116:117], s[24:25], -v[68:69]
	v_mul_f64_e32 v[68:69], s[18:19], v[96:97]
	s_delay_alu instid0(VALU_DEP_3) | instskip(SKIP_1) | instid1(VALU_DEP_4)
	v_add_f64_e32 v[22:23], v[84:85], v[22:23]
	v_mul_f64_e32 v[84:85], s[10:11], v[144:145]
	v_add_f64_e32 v[30:31], v[52:53], v[30:31]
	s_delay_alu instid0(VALU_DEP_2) | instskip(SKIP_1) | instid1(VALU_DEP_2)
	v_fma_f64 v[86:87], v[183:184], s[30:31], v[84:85]
	v_fma_f64 v[84:85], v[183:184], s[42:43], v[84:85]
	v_add_f64_e32 v[20:21], v[86:87], v[20:21]
	v_mul_f64_e32 v[86:87], s[42:43], v[181:182]
	s_delay_alu instid0(VALU_DEP_3) | instskip(SKIP_1) | instid1(VALU_DEP_3)
	v_add_f64_e32 v[28:29], v[84:85], v[28:29]
	v_mul_f64_e32 v[84:85], s[24:25], v[104:105]
	v_fma_f64 v[88:89], v[130:131], s[10:11], v[86:87]
	v_fma_f64 v[52:53], v[130:131], s[10:11], -v[86:87]
	s_delay_alu instid0(VALU_DEP_2) | instskip(SKIP_1) | instid1(VALU_DEP_3)
	v_add_f64_e32 v[22:23], v[88:89], v[22:23]
	v_mul_f64_e32 v[88:89], s[22:23], v[153:154]
	v_add_f64_e32 v[30:31], v[52:53], v[30:31]
	s_delay_alu instid0(VALU_DEP_2) | instskip(SKIP_1) | instid1(VALU_DEP_2)
	v_fma_f64 v[90:91], v[191:192], s[46:47], v[88:89]
	v_fma_f64 v[88:89], v[191:192], s[36:37], v[88:89]
	v_add_f64_e32 v[20:21], v[90:91], v[20:21]
	v_mul_f64_e32 v[90:91], s[36:37], v[185:186]
	s_delay_alu instid0(VALU_DEP_3) | instskip(NEXT) | instid1(VALU_DEP_2)
	v_add_f64_e32 v[28:29], v[88:89], v[28:29]
	v_fma_f64 v[92:93], v[138:139], s[22:23], v[90:91]
	v_fma_f64 v[52:53], v[138:139], s[22:23], -v[90:91]
	s_delay_alu instid0(VALU_DEP_2) | instskip(SKIP_1) | instid1(VALU_DEP_3)
	v_add_f64_e32 v[92:93], v[92:93], v[22:23]
	v_fma_f64 v[22:23], v[209:210], s[34:35], v[114:115]
	v_add_f64_e32 v[52:53], v[52:53], v[30:31]
	s_delay_alu instid0(VALU_DEP_2) | instskip(SKIP_1) | instid1(VALU_DEP_1)
	v_add_f64_e32 v[22:23], v[22:23], v[20:21]
	v_fma_f64 v[20:21], v[149:150], s[18:19], v[94:95]
	v_add_f64_e32 v[20:21], v[20:21], v[92:93]
	v_fma_f64 v[92:93], v[209:210], s[58:59], v[114:115]
	s_delay_alu instid0(VALU_DEP_1) | instskip(SKIP_4) | instid1(VALU_DEP_2)
	v_add_f64_e32 v[30:31], v[92:93], v[28:29]
	v_add_f64_e32 v[28:29], v[54:55], v[52:53]
	v_mul_f64_e32 v[52:53], s[22:23], v[144:145]
	v_mul_f64_e32 v[54:55], s[26:27], v[134:135]
	s_wait_loadcnt 0x0
	v_add_f64_e32 v[52:53], v[0:1], v[52:53]
	scratch_load_b64 v[0:1], off, off offset:380 th:TH_LOAD_LU ; 8-byte Folded Reload
	s_wait_loadcnt 0x0
	v_add_f64_e32 v[54:55], v[0:1], v[54:55]
	scratch_load_b64 v[0:1], off, off offset:356 th:TH_LOAD_LU ; 8-byte Folded Reload
	;; [unrolled: 3-line block ×5, first 2 shown]
	v_add_f64_e32 v[32:33], v[60:61], v[32:33]
	v_mul_f64_e32 v[60:61], s[28:29], v[108:109]
	s_delay_alu instid0(VALU_DEP_2) | instskip(SKIP_1) | instid1(VALU_DEP_2)
	v_add_f64_e32 v[32:33], v[58:59], v[32:33]
	v_mul_f64_e32 v[58:59], s[10:11], v[153:154]
	v_add_f64_e32 v[32:33], v[56:57], v[32:33]
	v_mul_f64_e32 v[56:57], s[10:11], v[138:139]
	s_delay_alu instid0(VALU_DEP_2) | instskip(SKIP_1) | instid1(VALU_DEP_2)
	v_add_f64_e32 v[32:33], v[54:55], v[32:33]
	v_mul_f64_e32 v[54:55], s[2:3], v[159:160]
	v_add_f64_e32 v[32:33], v[52:53], v[32:33]
	v_mul_f64_e32 v[52:53], s[2:3], v[149:150]
	s_wait_loadcnt 0x0
	v_add_f64_e64 v[62:63], v[62:63], -v[0:1]
	scratch_load_b64 v[0:1], off, off offset:340 th:TH_LOAD_LU ; 8-byte Folded Reload
	s_wait_loadcnt 0x0
	v_add_f64_e64 v[66:67], v[66:67], -v[0:1]
	scratch_load_b64 v[0:1], off, off offset:268 th:TH_LOAD_LU ; 8-byte Folded Reload
	;; [unrolled: 3-line block ×3, first 2 shown]
	v_add_f64_e32 v[34:35], v[68:69], v[34:35]
	v_mul_f64_e32 v[68:69], s[24:25], v[96:97]
	s_delay_alu instid0(VALU_DEP_1) | instskip(NEXT) | instid1(VALU_DEP_1)
	v_add_f64_e64 v[68:69], v[68:69], -v[4:5]
	v_add_f64_e32 v[38:39], v[68:69], v[38:39]
	v_mul_f64_e32 v[68:69], s[28:29], v[96:97]
	s_delay_alu instid0(VALU_DEP_1) | instskip(NEXT) | instid1(VALU_DEP_1)
	v_add_f64_e64 v[68:69], v[68:69], -v[2:3]
	v_add_f64_e32 v[42:43], v[68:69], v[42:43]
	v_mul_f64_e32 v[68:69], s[26:27], v[96:97]
	s_wait_loadcnt 0x0
	v_add_f64_e64 v[84:85], v[84:85], -v[0:1]
	scratch_load_b64 v[0:1], off, off offset:308 th:TH_LOAD_LU ; 8-byte Folded Reload
	v_add_f64_e32 v[34:35], v[84:85], v[34:35]
	v_mul_f64_e32 v[84:85], s[28:29], v[104:105]
	s_delay_alu instid0(VALU_DEP_1) | instskip(NEXT) | instid1(VALU_DEP_1)
	v_add_f64_e64 v[84:85], v[84:85], -v[6:7]
	v_add_f64_e32 v[38:39], v[84:85], v[38:39]
	v_mul_f64_e32 v[84:85], s[22:23], v[104:105]
	s_delay_alu instid0(VALU_DEP_1) | instskip(NEXT) | instid1(VALU_DEP_1)
	v_add_f64_e64 v[84:85], v[84:85], -v[8:9]
	v_add_f64_e32 v[42:43], v[84:85], v[42:43]
	v_mul_f64_e32 v[84:85], s[4:5], v[104:105]
	s_wait_loadcnt 0x0
	v_add_f64_e64 v[60:61], v[60:61], -v[0:1]
	scratch_load_b64 v[0:1], off, off offset:388 th:TH_LOAD_LU ; 8-byte Folded Reload
	v_add_f64_e32 v[34:35], v[60:61], v[34:35]
	v_mul_f64_e32 v[60:61], s[24:25], v[100:101]
	s_delay_alu instid0(VALU_DEP_2) | instskip(SKIP_1) | instid1(VALU_DEP_2)
	v_add_f64_e32 v[34:35], v[66:67], v[34:35]
	v_mul_f64_e32 v[66:67], s[4:5], v[116:117]
	v_add_f64_e32 v[34:35], v[62:63], v[34:35]
	v_mul_f64_e32 v[62:63], s[2:3], v[130:131]
	s_wait_loadcnt 0x0
	v_add_f64_e32 v[58:59], v[0:1], v[58:59]
	scratch_load_b64 v[0:1], off, off offset:348 th:TH_LOAD_LU ; 8-byte Folded Reload
	v_add_f64_e32 v[32:33], v[58:59], v[32:33]
	v_mul_f64_e32 v[58:59], s[28:29], v[112:113]
	s_wait_loadcnt 0x0
	v_add_f64_e64 v[56:57], v[56:57], -v[0:1]
	scratch_load_b64 v[0:1], off, off offset:412 th:TH_LOAD_LU ; 8-byte Folded Reload
	v_add_f64_e32 v[56:57], v[56:57], v[34:35]
	s_wait_loadcnt 0x0
	v_add_f64_e32 v[54:55], v[0:1], v[54:55]
	scratch_load_b64 v[0:1], off, off offset:364 th:TH_LOAD_LU ; 8-byte Folded Reload
	v_add_f64_e32 v[34:35], v[54:55], v[32:33]
	v_mul_f64_e32 v[54:55], s[4:5], v[134:135]
	s_wait_loadcnt 0x0
	v_add_f64_e64 v[52:53], v[52:53], -v[0:1]
	scratch_load_b64 v[0:1], off, off offset:604 th:TH_LOAD_LU ; 8-byte Folded Reload
	v_add_f64_e32 v[32:33], v[52:53], v[56:57]
	v_mul_f64_e32 v[56:57], s[22:23], v[120:121]
	v_mul_f64_e32 v[52:53], s[2:3], v[144:145]
	s_delay_alu instid0(VALU_DEP_1)
	v_add_f64_e32 v[52:53], v[217:218], v[52:53]
	s_wait_loadcnt 0x0
	v_add_f64_e32 v[54:55], v[0:1], v[54:55]
	scratch_load_b64 v[0:1], off, off offset:484 th:TH_LOAD_LU ; 8-byte Folded Reload
	s_wait_loadcnt 0x0
	v_add_f64_e32 v[56:57], v[0:1], v[56:57]
	scratch_load_b64 v[0:1], off, off offset:428 th:TH_LOAD_LU ; 8-byte Folded Reload
	;; [unrolled: 3-line block ×4, first 2 shown]
	v_add_f64_e32 v[36:37], v[60:61], v[36:37]
	v_mul_f64_e32 v[60:61], s[22:23], v[108:109]
	s_delay_alu instid0(VALU_DEP_2) | instskip(SKIP_1) | instid1(VALU_DEP_2)
	v_add_f64_e32 v[36:37], v[58:59], v[36:37]
	v_mul_f64_e32 v[58:59], s[18:19], v[153:154]
	v_add_f64_e32 v[36:37], v[56:57], v[36:37]
	v_mul_f64_e32 v[56:57], s[18:19], v[138:139]
	s_delay_alu instid0(VALU_DEP_2) | instskip(SKIP_1) | instid1(VALU_DEP_2)
	v_add_f64_e32 v[36:37], v[54:55], v[36:37]
	v_mul_f64_e32 v[54:55], s[26:27], v[159:160]
	v_add_f64_e32 v[36:37], v[52:53], v[36:37]
	v_mul_f64_e32 v[52:53], s[26:27], v[149:150]
	s_wait_loadcnt 0x0
	v_add_f64_e64 v[62:63], v[62:63], -v[0:1]
	scratch_load_b64 v[0:1], off, off offset:476 th:TH_LOAD_LU ; 8-byte Folded Reload
	s_wait_loadcnt 0x0
	v_add_f64_e64 v[66:67], v[66:67], -v[0:1]
	scratch_load_b64 v[0:1], off, off offset:396 th:TH_LOAD_LU ; 8-byte Folded Reload
	;; [unrolled: 3-line block ×3, first 2 shown]
	v_add_f64_e32 v[38:39], v[60:61], v[38:39]
	v_mul_f64_e32 v[60:61], s[28:29], v[100:101]
	s_delay_alu instid0(VALU_DEP_2) | instskip(SKIP_1) | instid1(VALU_DEP_2)
	v_add_f64_e32 v[38:39], v[66:67], v[38:39]
	v_mul_f64_e32 v[66:67], s[10:11], v[116:117]
	v_add_f64_e32 v[38:39], v[62:63], v[38:39]
	v_mul_f64_e32 v[62:63], s[26:27], v[130:131]
	s_wait_loadcnt 0x0
	v_add_f64_e32 v[58:59], v[0:1], v[58:59]
	scratch_load_b64 v[0:1], off, off offset:468 th:TH_LOAD_LU ; 8-byte Folded Reload
	v_add_f64_e32 v[36:37], v[58:59], v[36:37]
	v_mul_f64_e32 v[58:59], s[22:23], v[112:113]
	s_wait_loadcnt 0x0
	v_add_f64_e64 v[56:57], v[56:57], -v[0:1]
	scratch_load_b64 v[0:1], off, off offset:516 th:TH_LOAD_LU ; 8-byte Folded Reload
	v_add_f64_e32 v[56:57], v[56:57], v[38:39]
	s_wait_loadcnt 0x0
	v_add_f64_e32 v[54:55], v[0:1], v[54:55]
	scratch_load_b64 v[0:1], off, off offset:452 th:TH_LOAD_LU ; 8-byte Folded Reload
	v_add_f64_e32 v[38:39], v[54:55], v[36:37]
	v_mul_f64_e32 v[54:55], s[10:11], v[134:135]
	s_delay_alu instid0(VALU_DEP_1)
	v_add_f64_e32 v[54:55], v[207:208], v[54:55]
	s_wait_loadcnt 0x0
	v_add_f64_e64 v[52:53], v[52:53], -v[0:1]
	scratch_load_b64 v[0:1], off, off offset:620 th:TH_LOAD_LU ; 8-byte Folded Reload
	v_add_f64_e32 v[36:37], v[52:53], v[56:57]
	v_mul_f64_e32 v[56:57], s[2:3], v[120:121]
	v_mul_f64_e32 v[52:53], s[26:27], v[144:145]
	s_delay_alu instid0(VALU_DEP_1) | instskip(SKIP_1) | instid1(VALU_DEP_3)
	v_add_f64_e32 v[52:53], v[233:234], v[52:53]
	s_wait_loadcnt 0x0
	v_add_f64_e32 v[56:57], v[0:1], v[56:57]
	scratch_load_b64 v[0:1], off, off offset:540 th:TH_LOAD_LU ; 8-byte Folded Reload
	s_wait_loadcnt 0x0
	v_add_f64_e32 v[58:59], v[0:1], v[58:59]
	scratch_load_b64 v[0:1], off, off offset:460 th:TH_LOAD_LU ; 8-byte Folded Reload
	;; [unrolled: 3-line block ×3, first 2 shown]
	v_add_f64_e32 v[40:41], v[60:61], v[40:41]
	v_mul_f64_e32 v[60:61], s[2:3], v[108:109]
	s_delay_alu instid0(VALU_DEP_2) | instskip(SKIP_1) | instid1(VALU_DEP_2)
	v_add_f64_e32 v[40:41], v[58:59], v[40:41]
	v_mul_f64_e32 v[58:59], s[24:25], v[153:154]
	v_add_f64_e32 v[40:41], v[56:57], v[40:41]
	v_mul_f64_e32 v[56:57], s[24:25], v[138:139]
	s_delay_alu instid0(VALU_DEP_2) | instskip(SKIP_1) | instid1(VALU_DEP_2)
	v_add_f64_e32 v[40:41], v[54:55], v[40:41]
	v_mul_f64_e32 v[54:55], s[4:5], v[159:160]
	v_add_f64_e32 v[40:41], v[52:53], v[40:41]
	v_mul_f64_e32 v[52:53], s[4:5], v[149:150]
	s_wait_loadcnt 0x0
	v_add_f64_e64 v[62:63], v[62:63], -v[0:1]
	scratch_load_b64 v[0:1], off, off offset:564 th:TH_LOAD_LU ; 8-byte Folded Reload
	s_wait_loadcnt 0x0
	v_add_f64_e64 v[66:67], v[66:67], -v[0:1]
	scratch_load_b64 v[0:1], off, off offset:444 th:TH_LOAD_LU ; 8-byte Folded Reload
	;; [unrolled: 3-line block ×3, first 2 shown]
	v_add_f64_e32 v[42:43], v[60:61], v[42:43]
	v_mul_f64_e32 v[60:61], s[26:27], v[100:101]
	s_delay_alu instid0(VALU_DEP_2) | instskip(SKIP_1) | instid1(VALU_DEP_2)
	v_add_f64_e32 v[42:43], v[66:67], v[42:43]
	v_mul_f64_e32 v[66:67], s[28:29], v[116:117]
	v_add_f64_e32 v[42:43], v[62:63], v[42:43]
	v_mul_f64_e32 v[62:63], s[18:19], v[130:131]
	s_delay_alu instid0(VALU_DEP_3) | instskip(NEXT) | instid1(VALU_DEP_2)
	v_add_f64_e64 v[66:67], v[66:67], -v[199:200]
	v_add_f64_e64 v[62:63], v[62:63], -v[227:228]
	s_wait_loadcnt 0x0
	v_add_f64_e32 v[58:59], v[0:1], v[58:59]
	scratch_load_b64 v[0:1], off, off offset:556 th:TH_LOAD_LU ; 8-byte Folded Reload
	v_add_f64_e32 v[40:41], v[58:59], v[40:41]
	v_mul_f64_e32 v[58:59], s[4:5], v[112:113]
	s_wait_loadcnt 0x0
	v_add_f64_e64 v[56:57], v[56:57], -v[0:1]
	scratch_load_b64 v[0:1], off, off offset:612 th:TH_LOAD_LU ; 8-byte Folded Reload
	v_add_f64_e32 v[56:57], v[56:57], v[42:43]
	s_wait_loadcnt 0x0
	v_add_f64_e32 v[54:55], v[0:1], v[54:55]
	scratch_load_b64 v[0:1], off, off offset:532 th:TH_LOAD_LU ; 8-byte Folded Reload
	v_add_f64_e32 v[42:43], v[54:55], v[40:41]
	v_mul_f64_e32 v[54:55], s[28:29], v[134:135]
	s_delay_alu instid0(VALU_DEP_1)
	v_add_f64_e32 v[54:55], v[241:242], v[54:55]
	s_wait_loadcnt 0x0
	v_add_f64_e64 v[52:53], v[52:53], -v[0:1]
	scratch_load_b64 v[0:1], off, off offset:644 th:TH_LOAD_LU ; 8-byte Folded Reload
	v_add_f64_e32 v[40:41], v[52:53], v[56:57]
	v_mul_f64_e32 v[56:57], s[10:11], v[120:121]
	v_mul_f64_e32 v[52:53], s[18:19], v[144:145]
	s_delay_alu instid0(VALU_DEP_2) | instskip(NEXT) | instid1(VALU_DEP_2)
	v_add_f64_e32 v[56:57], v[215:216], v[56:57]
	v_add_f64_e32 v[52:53], v[102:103], v[52:53]
	s_wait_loadcnt 0x0
	v_add_f64_e32 v[58:59], v[0:1], v[58:59]
	scratch_load_b64 v[0:1], off, off offset:548 th:TH_LOAD_LU ; 8-byte Folded Reload
	s_wait_loadcnt 0x0
	v_add_f64_e32 v[60:61], v[0:1], v[60:61]
	scratch_load_b64 v[0:1], off, off offset:436 th:TH_LOAD_LU ; 8-byte Folded Reload
	v_add_f64_e32 v[60:61], v[60:61], v[80:81]
	v_mul_f64_e32 v[80:81], s[10:11], v[108:109]
	s_delay_alu instid0(VALU_DEP_2) | instskip(NEXT) | instid1(VALU_DEP_1)
	v_add_f64_e32 v[58:59], v[58:59], v[60:61]
	v_add_f64_e32 v[56:57], v[56:57], v[58:59]
	s_delay_alu instid0(VALU_DEP_1) | instskip(NEXT) | instid1(VALU_DEP_1)
	v_add_f64_e32 v[54:55], v[54:55], v[56:57]
	v_add_f64_e32 v[52:53], v[52:53], v[54:55]
	s_wait_loadcnt 0x0
	v_add_f64_e64 v[68:69], v[68:69], -v[0:1]
	scratch_load_b64 v[0:1], off, off offset:492 th:TH_LOAD_LU ; 8-byte Folded Reload
	v_add_f64_e32 v[68:69], v[68:69], v[82:83]
	v_mul_f64_e32 v[82:83], s[22:23], v[96:97]
	s_wait_loadcnt 0x0
	v_add_f64_e64 v[84:85], v[84:85], -v[0:1]
	scratch_load_b64 v[0:1], off, off offset:508 th:TH_LOAD_LU ; 8-byte Folded Reload
	v_add_f64_e32 v[60:61], v[84:85], v[68:69]
	v_mul_f64_e32 v[84:85], s[2:3], v[104:105]
	v_mul_f64_e32 v[68:69], s[2:3], v[153:154]
	s_delay_alu instid0(VALU_DEP_1) | instskip(NEXT) | instid1(VALU_DEP_1)
	v_add_f64_e32 v[68:69], v[219:220], v[68:69]
	v_add_f64_e32 v[52:53], v[68:69], v[52:53]
	v_mul_f64_e32 v[68:69], s[4:5], v[130:131]
	s_delay_alu instid0(VALU_DEP_1)
	v_add_f64_e64 v[68:69], v[68:69], -v[247:248]
	s_wait_loadcnt 0x0
	v_add_f64_e64 v[80:81], v[80:81], -v[0:1]
	scratch_load_b64 v[0:1], off, off offset:660 th:TH_LOAD_LU ; 8-byte Folded Reload
	v_add_f64_e32 v[58:59], v[80:81], v[60:61]
	v_mul_f64_e32 v[60:61], s[2:3], v[138:139]
	v_mul_f64_e32 v[80:81], s[18:19], v[116:117]
	s_delay_alu instid0(VALU_DEP_3) | instskip(SKIP_2) | instid1(VALU_DEP_4)
	v_add_f64_e32 v[56:57], v[66:67], v[58:59]
	v_mul_f64_e32 v[66:67], s[22:23], v[100:101]
	v_mul_f64_e32 v[58:59], s[24:25], v[159:160]
	v_add_f64_e64 v[80:81], v[80:81], -v[225:226]
	s_delay_alu instid0(VALU_DEP_4) | instskip(SKIP_1) | instid1(VALU_DEP_4)
	v_add_f64_e32 v[54:55], v[62:63], v[56:57]
	v_mul_f64_e32 v[56:57], s[24:25], v[149:150]
	v_add_f64_e32 v[58:59], v[211:212], v[58:59]
	v_mul_f64_e32 v[62:63], s[2:3], v[112:113]
	s_delay_alu instid0(VALU_DEP_1)
	v_add_f64_e32 v[62:63], v[223:224], v[62:63]
	s_wait_loadcnt 0x0
	v_add_f64_e64 v[60:61], v[60:61], -v[0:1]
	scratch_load_b64 v[0:1], off, off offset:636 th:TH_LOAD_LU ; 8-byte Folded Reload
	v_add_f64_e32 v[60:61], v[60:61], v[54:55]
	v_add_f64_e32 v[54:55], v[58:59], v[52:53]
	v_mul_f64_e32 v[58:59], s[18:19], v[134:135]
	s_delay_alu instid0(VALU_DEP_1)
	v_add_f64_e32 v[58:59], v[253:254], v[58:59]
	s_wait_loadcnt 0x0
	v_add_f64_e64 v[56:57], v[56:57], -v[0:1]
	scratch_load_b64 v[0:1], off, off offset:652 th:TH_LOAD_LU ; 8-byte Folded Reload
	v_add_f64_e32 v[52:53], v[56:57], v[60:61]
	v_mul_f64_e32 v[60:61], s[26:27], v[120:121]
	v_mul_f64_e32 v[56:57], s[4:5], v[144:145]
	s_delay_alu instid0(VALU_DEP_2) | instskip(NEXT) | instid1(VALU_DEP_2)
	v_add_f64_e32 v[60:61], v[243:244], v[60:61]
	v_add_f64_e32 v[56:57], v[118:119], v[56:57]
	s_wait_loadcnt 0x0
	v_add_f64_e32 v[66:67], v[0:1], v[66:67]
	scratch_load_b64 v[0:1], off, off offset:500 th:TH_LOAD_LU ; 8-byte Folded Reload
	v_add_f64_e32 v[66:67], v[66:67], v[76:77]
	s_delay_alu instid0(VALU_DEP_1) | instskip(NEXT) | instid1(VALU_DEP_1)
	v_add_f64_e32 v[62:63], v[62:63], v[66:67]
	v_add_f64_e32 v[60:61], v[60:61], v[62:63]
	s_delay_alu instid0(VALU_DEP_1) | instskip(NEXT) | instid1(VALU_DEP_1)
	v_add_f64_e32 v[58:59], v[58:59], v[60:61]
	v_add_f64_e32 v[56:57], v[56:57], v[58:59]
	s_wait_loadcnt 0x0
	v_add_f64_e64 v[82:83], v[82:83], -v[0:1]
	scratch_load_b64 v[0:1], off, off offset:588 th:TH_LOAD_LU ; 8-byte Folded Reload
	v_add_f64_e32 v[76:77], v[82:83], v[78:79]
	v_mul_f64_e32 v[78:79], s[26:27], v[108:109]
	v_mul_f64_e32 v[82:83], s[10:11], v[96:97]
	s_wait_loadcnt 0x0
	v_add_f64_e64 v[84:85], v[84:85], -v[0:1]
	scratch_load_b64 v[0:1], off, off offset:596 th:TH_LOAD_LU ; 8-byte Folded Reload
	v_add_f64_e32 v[66:67], v[84:85], v[76:77]
	v_mul_f64_e32 v[76:77], s[28:29], v[153:154]
	v_mul_f64_e32 v[84:85], s[18:19], v[104:105]
	s_delay_alu instid0(VALU_DEP_2) | instskip(NEXT) | instid1(VALU_DEP_2)
	v_add_f64_e32 v[76:77], v[235:236], v[76:77]
	v_add_f64_e64 v[84:85], v[84:85], -v[197:198]
	s_delay_alu instid0(VALU_DEP_2) | instskip(SKIP_1) | instid1(VALU_DEP_1)
	v_add_f64_e32 v[56:57], v[76:77], v[56:57]
	v_mul_f64_e32 v[76:77], s[10:11], v[100:101]
	v_add_f64_e32 v[76:77], v[213:214], v[76:77]
	s_delay_alu instid0(VALU_DEP_1) | instskip(SKIP_1) | instid1(VALU_DEP_1)
	v_add_f64_e32 v[72:73], v[76:77], v[72:73]
	v_mul_f64_e32 v[76:77], s[24:25], v[108:109]
	v_add_f64_e64 v[76:77], v[76:77], -v[201:202]
	s_wait_loadcnt 0x0
	v_add_f64_e64 v[78:79], v[78:79], -v[0:1]
	scratch_load_b64 v[0:1], off, off offset:580 th:TH_LOAD_LU ; 8-byte Folded Reload
	v_add_f64_e32 v[62:63], v[78:79], v[66:67]
	v_mul_f64_e32 v[66:67], s[28:29], v[138:139]
	v_mul_f64_e32 v[78:79], s[28:29], v[130:131]
	s_delay_alu instid0(VALU_DEP_3) | instskip(NEXT) | instid1(VALU_DEP_3)
	v_add_f64_e32 v[60:61], v[80:81], v[62:63]
	v_add_f64_e64 v[66:67], v[66:67], -v[221:222]
	v_mul_f64_e32 v[62:63], s[10:11], v[159:160]
	v_mul_f64_e32 v[80:81], s[2:3], v[116:117]
	v_add_f64_e64 v[78:79], v[78:79], -v[106:107]
	v_add_f64_e32 v[58:59], v[68:69], v[60:61]
	v_mul_f64_e32 v[60:61], s[10:11], v[149:150]
	v_add_f64_e32 v[62:63], v[231:232], v[62:63]
	v_mul_f64_e32 v[68:69], s[18:19], v[112:113]
	v_add_f64_e64 v[80:81], v[80:81], -v[245:246]
	v_add_f64_e32 v[66:67], v[66:67], v[58:59]
	v_add_f64_e64 v[60:61], v[60:61], -v[205:206]
	v_add_f64_e32 v[58:59], v[62:63], v[56:57]
	v_add_f64_e32 v[68:69], v[239:240], v[68:69]
	v_mul_f64_e32 v[62:63], s[2:3], v[134:135]
	s_delay_alu instid0(VALU_DEP_4) | instskip(SKIP_1) | instid1(VALU_DEP_4)
	v_add_f64_e32 v[56:57], v[60:61], v[66:67]
	v_mul_f64_e32 v[66:67], s[24:25], v[120:121]
	v_add_f64_e32 v[68:69], v[68:69], v[72:73]
	v_mul_f64_e32 v[60:61], s[28:29], v[144:145]
	v_add_f64_e32 v[62:63], v[110:111], v[62:63]
	s_delay_alu instid0(VALU_DEP_4) | instskip(NEXT) | instid1(VALU_DEP_3)
	v_add_f64_e32 v[66:67], v[251:252], v[66:67]
	v_add_f64_e32 v[60:61], v[122:123], v[60:61]
	s_delay_alu instid0(VALU_DEP_2) | instskip(NEXT) | instid1(VALU_DEP_1)
	v_add_f64_e32 v[66:67], v[66:67], v[68:69]
	v_add_f64_e32 v[62:63], v[62:63], v[66:67]
	s_wait_loadcnt 0x0
	v_add_f64_e64 v[82:83], v[82:83], -v[0:1]
	scratch_load_b64 v[0:1], off, off offset:212 th:TH_LOAD_LU ; 8-byte Folded Reload
	v_add_f64_e32 v[60:61], v[60:61], v[62:63]
	v_add_f64_e32 v[74:75], v[82:83], v[74:75]
	v_mul_f64_e32 v[82:83], s[10:11], v[104:105]
	s_delay_alu instid0(VALU_DEP_2) | instskip(SKIP_2) | instid1(VALU_DEP_3)
	v_add_f64_e32 v[72:73], v[84:85], v[74:75]
	v_mul_f64_e32 v[74:75], s[4:5], v[153:154]
	v_mul_f64_e32 v[84:85], s[18:19], v[108:109]
	v_add_f64_e32 v[68:69], v[76:77], v[72:73]
	v_mul_f64_e32 v[72:73], s[4:5], v[138:139]
	s_delay_alu instid0(VALU_DEP_4) | instskip(SKIP_1) | instid1(VALU_DEP_4)
	v_add_f64_e32 v[74:75], v[98:99], v[74:75]
	v_mul_f64_e32 v[76:77], s[4:5], v[100:101]
	v_add_f64_e32 v[66:67], v[80:81], v[68:69]
	s_delay_alu instid0(VALU_DEP_4)
	v_add_f64_e64 v[72:73], v[72:73], -v[237:238]
	v_mul_f64_e32 v[68:69], s[22:23], v[159:160]
	v_add_f64_e32 v[60:61], v[74:75], v[60:61]
	v_mul_f64_e32 v[74:75], s[10:11], v[112:113]
	v_mul_f64_e32 v[80:81], s[4:5], v[96:97]
	v_add_f64_e32 v[62:63], v[78:79], v[66:67]
	v_mul_f64_e32 v[66:67], s[22:23], v[149:150]
	v_add_f64_e32 v[68:69], v[249:250], v[68:69]
	v_mul_f64_e32 v[78:79], s[24:25], v[130:131]
	s_delay_alu instid0(VALU_DEP_4) | instskip(NEXT) | instid1(VALU_DEP_4)
	v_add_f64_e32 v[72:73], v[72:73], v[62:63]
	v_add_f64_e64 v[66:67], v[66:67], -v[229:230]
	s_delay_alu instid0(VALU_DEP_4) | instskip(SKIP_1) | instid1(VALU_DEP_3)
	v_add_f64_e32 v[62:63], v[68:69], v[60:61]
	v_mul_f64_e32 v[68:69], s[22:23], v[134:135]
	v_add_f64_e32 v[60:61], v[66:67], v[72:73]
	v_mul_f64_e32 v[66:67], s[24:25], v[144:145]
	v_mul_f64_e32 v[72:73], s[18:19], v[120:121]
	s_wait_loadcnt 0x0
	s_delay_alu instid0(VALU_DEP_2)
	v_add_f64_e32 v[66:67], v[0:1], v[66:67]
	scratch_load_b64 v[0:1], off, off offset:196 th:TH_LOAD_LU ; 8-byte Folded Reload
	s_wait_loadcnt 0x0
	v_add_f64_e32 v[68:69], v[0:1], v[68:69]
	scratch_load_b64 v[0:1], off, off offset:148 th:TH_LOAD_LU ; 8-byte Folded Reload
	s_wait_loadcnt 0x0
	;; [unrolled: 3-line block ×4, first 2 shown]
	v_add_f64_e32 v[76:77], v[0:1], v[76:77]
	scratch_load_b64 v[0:1], off, off offset:180 th:TH_LOAD_LU ; 8-byte Folded Reload
	v_add_f64_e32 v[64:65], v[76:77], v[64:65]
	v_mul_f64_e32 v[76:77], s[22:23], v[116:117]
	s_delay_alu instid0(VALU_DEP_2) | instskip(SKIP_1) | instid1(VALU_DEP_2)
	v_add_f64_e32 v[64:65], v[74:75], v[64:65]
	v_mul_f64_e32 v[74:75], s[26:27], v[153:154]
	v_add_f64_e32 v[64:65], v[72:73], v[64:65]
	v_mul_f64_e32 v[72:73], s[26:27], v[138:139]
	s_delay_alu instid0(VALU_DEP_2) | instskip(NEXT) | instid1(VALU_DEP_1)
	v_add_f64_e32 v[64:65], v[68:69], v[64:65]
	v_add_f64_e32 v[64:65], v[66:67], v[64:65]
	s_wait_loadcnt 0x0
	v_add_f64_e64 v[78:79], v[78:79], -v[0:1]
	scratch_load_b64 v[0:1], off, off offset:60 th:TH_LOAD_LU ; 8-byte Folded Reload
	s_wait_loadcnt 0x0
	v_add_f64_e64 v[80:81], v[80:81], -v[0:1]
	scratch_load_b64 v[0:1], off, off offset:84 th:TH_LOAD_LU ; 8-byte Folded Reload
	v_add_f64_e32 v[70:71], v[80:81], v[70:71]
	s_wait_loadcnt 0x0
	v_add_f64_e64 v[82:83], v[82:83], -v[0:1]
	scratch_load_b64 v[0:1], off, off offset:100 th:TH_LOAD_LU ; 8-byte Folded Reload
	v_add_f64_e32 v[70:71], v[82:83], v[70:71]
	;; [unrolled: 4-line block ×4, first 2 shown]
	v_mul_f64_e32 v[70:71], s[28:29], v[159:160]
	s_delay_alu instid0(VALU_DEP_2)
	v_add_f64_e32 v[66:67], v[78:79], v[68:69]
	v_mul_f64_e32 v[68:69], s[28:29], v[149:150]
	s_wait_loadcnt 0x0
	v_add_f64_e32 v[74:75], v[0:1], v[74:75]
	scratch_load_b64 v[0:1], off, off offset:204 th:TH_LOAD_LU ; 8-byte Folded Reload
	v_add_f64_e32 v[64:65], v[74:75], v[64:65]
	s_wait_loadcnt 0x0
	v_add_f64_e64 v[72:73], v[72:73], -v[0:1]
	scratch_load_b64 v[0:1], off, off offset:236 th:TH_LOAD_LU ; 8-byte Folded Reload
	v_add_f64_e32 v[72:73], v[72:73], v[66:67]
	s_wait_loadcnt 0x0
	v_add_f64_e32 v[70:71], v[0:1], v[70:71]
	scratch_load_b64 v[0:1], off, off offset:220 th:TH_LOAD_LU ; 8-byte Folded Reload
	v_add_f64_e32 v[66:67], v[70:71], v[64:65]
	s_wait_loadcnt 0x0
	v_add_f64_e64 v[68:69], v[68:69], -v[0:1]
	v_mul_lo_u16 v0, v255, 17
	s_delay_alu instid0(VALU_DEP_1) | instskip(NEXT) | instid1(VALU_DEP_1)
	v_and_b32_e32 v0, 0xffff, v0
	v_add_lshl_u32 v0, v193, v0, 4
	ds_store_b128 v0, v[32:35] offset:32
	ds_store_b128 v0, v[44:47] offset:160
	;; [unrolled: 1-line block ×5, first 2 shown]
	scratch_load_b128 v[1:4], off, off offset:44 ; 16-byte Folded Reload
	v_add_f64_e32 v[64:65], v[68:69], v[72:73]
	s_wait_loadcnt 0x0
	ds_store_b128 v0, v[1:4] offset:224
	scratch_load_b128 v[1:4], off, off offset:28 ; 16-byte Folded Reload
	s_wait_loadcnt 0x0
	ds_store_b128 v0, v[1:4] offset:240
	ds_store_b128 v0, v[36:39] offset:48
	;; [unrolled: 1-line block ×9, first 2 shown]
	ds_store_b128 v0, v[24:27]
	scratch_load_b128 v[1:4], off, off offset:12 ; 16-byte Folded Reload
	s_wait_loadcnt 0x0
	ds_store_b128 v0, v[1:4] offset:256
.LBB0_7:
	s_wait_alu 0xfffe
	s_or_b32 exec_lo, exec_lo, s0
	v_add_lshl_u32 v211, v193, v255, 4
	global_wb scope:SCOPE_SE
	s_wait_storecnt_dscnt 0x0
	s_barrier_signal -1
	s_barrier_wait -1
	global_inv scope:SCOPE_SE
	ds_load_b128 v[56:59], v211
	ds_load_b128 v[60:63], v211 offset:544
	ds_load_b128 v[72:75], v211 offset:3536
	;; [unrolled: 1-line block ×9, first 2 shown]
	v_cmp_gt_u16_e64 s0, 17, v255
	s_delay_alu instid0(VALU_DEP_1)
	s_and_saveexec_b32 s1, s0
	s_cbranch_execz .LBB0_9
; %bb.8:
	ds_load_b128 v[44:47], v211 offset:2720
	ds_load_b128 v[48:51], v211 offset:5712
.LBB0_9:
	s_wait_alu 0xfffe
	s_or_b32 exec_lo, exec_lo, s1
	v_add_nc_u16 v0, v255, 34
	v_add_nc_u16 v1, v255, 0x44
	;; [unrolled: 1-line block ×4, first 2 shown]
	v_add_co_u32 v8, s1, 0xffffffef, v255
	v_and_b32_e32 v4, 0xff, v0
	v_and_b32_e32 v5, 0xff, v1
	;; [unrolled: 1-line block ×4, first 2 shown]
	s_wait_alu 0xf1ff
	v_add_co_ci_u32_e64 v9, null, 0, -1, s1
	v_mul_lo_u16 v4, 0xf1, v4
	v_mul_lo_u16 v5, 0xf1, v5
	;; [unrolled: 1-line block ×4, first 2 shown]
	v_cndmask_b32_e64 v97, v9, 0, s0
	v_lshrrev_b16 v4, 12, v4
	v_lshrrev_b16 v5, 12, v5
	;; [unrolled: 1-line block ×4, first 2 shown]
	v_cndmask_b32_e64 v96, v8, v255, s0
	v_mul_lo_u16 v9, v4, 17
	v_mul_lo_u16 v10, v5, 17
	;; [unrolled: 1-line block ×3, first 2 shown]
	v_and_b32_e32 v5, 0xffff, v5
	v_lshlrev_b64_e32 v[20:21], 4, v[96:97]
	v_sub_nc_u16 v0, v0, v9
	v_mul_lo_u16 v9, v7, 17
	v_sub_nc_u16 v1, v1, v10
	v_sub_nc_u16 v2, v2, v8
	v_and_b32_e32 v6, 0xffff, v6
	v_and_b32_e32 v10, 0xff, v0
	v_sub_nc_u16 v3, v3, v9
	v_and_b32_e32 v1, 0xff, v1
	v_add_co_u32 v20, s1, s8, v20
	v_and_b32_e32 v2, 0xff, v2
	s_wait_alu 0xf1ff
	v_add_co_ci_u32_e64 v21, s1, s9, v21, s1
	v_lshlrev_b32_e32 v8, 4, v10
	v_and_b32_e32 v3, 0xff, v3
	v_lshlrev_b32_e32 v9, 4, v1
	v_lshlrev_b32_e32 v10, 4, v2
	s_clause 0x1
	global_load_b128 v[28:31], v[20:21], off
	global_load_b128 v[32:35], v8, s[8:9]
	v_lshlrev_b32_e32 v8, 4, v3
	s_clause 0x1
	global_load_b128 v[36:39], v9, s[8:9]
	global_load_b128 v[24:27], v10, s[8:9]
	v_add_nc_u16 v9, v255, 0xaa
	v_cmp_lt_u16_e64 s1, 16, v255
	s_load_b128 s[4:7], s[16:17], 0x0
	global_load_b128 v[40:43], v8, s[8:9]
	v_and_b32_e32 v7, 0xffff, v7
	v_and_b32_e32 v8, 0xff, v9
	v_mad_u16 v0, v4, 34, v0
	v_mul_u32_u24_e32 v4, 34, v5
	v_mul_u32_u24_e32 v5, 34, v6
	;; [unrolled: 1-line block ×3, first 2 shown]
	v_mul_lo_u16 v8, 0xf1, v8
	v_and_b32_e32 v0, 0xff, v0
	v_add_nc_u32_e32 v1, v4, v1
	v_add_nc_u32_e32 v2, v5, v2
	;; [unrolled: 1-line block ×3, first 2 shown]
	v_lshrrev_b16 v8, 12, v8
	v_add_lshl_u32 v5, v193, v0, 4
	v_add_lshl_u32 v4, v193, v1, 4
	;; [unrolled: 1-line block ×4, first 2 shown]
	v_mul_lo_u16 v8, v8, 17
	s_delay_alu instid0(VALU_DEP_1) | instskip(NEXT) | instid1(VALU_DEP_1)
	v_sub_nc_u16 v8, v9, v8
	v_and_b32_e32 v8, 0xff, v8
	scratch_store_b32 off, v8, off offset:60 ; 4-byte Folded Spill
	v_lshlrev_b32_e32 v8, 4, v8
	global_load_b128 v[20:23], v8, s[8:9]
	v_cndmask_b32_e64 v8, 0, 34, s1
	s_delay_alu instid0(VALU_DEP_1) | instskip(NEXT) | instid1(VALU_DEP_1)
	v_add_nc_u32_e32 v8, v96, v8
	v_add_lshl_u32 v7, v193, v8, 4
	s_wait_loadcnt_dscnt 0x503
	v_mul_f64_e32 v[92:93], v[90:91], v[30:31]
	v_mul_f64_e32 v[94:95], v[88:89], v[30:31]
	s_wait_loadcnt 0x4
	v_mul_f64_e32 v[97:98], v[74:75], v[34:35]
	s_wait_loadcnt 0x2
	scratch_store_b128 off, v[24:27], off offset:68 ; 16-byte Folded Spill
	s_wait_dscnt 0x1
	v_mul_f64_e32 v[105:106], v[86:87], v[26:27]
	v_mul_f64_e32 v[107:108], v[84:85], v[26:27]
	;; [unrolled: 1-line block ×5, first 2 shown]
	s_wait_loadcnt_dscnt 0x100
	v_mul_f64_e32 v[109:110], v[82:83], v[42:43]
	v_mul_f64_e32 v[111:112], v[80:81], v[42:43]
	s_clause 0x3
	scratch_store_b128 off, v[28:31], off offset:84
	scratch_store_b128 off, v[32:35], off offset:100
	;; [unrolled: 1-line block ×4, first 2 shown]
	v_fma_f64 v[88:89], v[88:89], v[28:29], -v[92:93]
	v_fma_f64 v[90:91], v[90:91], v[28:29], v[94:95]
	v_fma_f64 v[92:93], v[72:73], v[32:33], -v[97:98]
	v_fma_f64 v[84:85], v[84:85], v[24:25], -v[105:106]
	v_fma_f64 v[86:87], v[86:87], v[24:25], v[107:108]
	v_fma_f64 v[94:95], v[74:75], v[32:33], v[99:100]
	s_wait_loadcnt 0x0
	v_mul_f64_e32 v[105:106], v[50:51], v[22:23]
	v_mul_f64_e32 v[107:108], v[48:49], v[22:23]
	v_fma_f64 v[97:98], v[76:77], v[36:37], -v[101:102]
	v_fma_f64 v[99:100], v[78:79], v[36:37], v[103:104]
	v_fma_f64 v[101:102], v[80:81], v[40:41], -v[109:110]
	v_fma_f64 v[103:104], v[82:83], v[40:41], v[111:112]
	scratch_store_b128 off, v[20:23], off offset:308 ; 16-byte Folded Spill
	global_wb scope:SCOPE_SE
	s_wait_storecnt 0x0
	s_wait_kmcnt 0x0
	s_barrier_signal -1
	s_barrier_wait -1
	global_inv scope:SCOPE_SE
	scratch_store_b32 off, v7, off offset:228 ; 4-byte Folded Spill
	v_add_f64_e64 v[72:73], v[56:57], -v[88:89]
	v_add_f64_e64 v[74:75], v[58:59], -v[90:91]
	;; [unrolled: 1-line block ×6, first 2 shown]
	v_fma_f64 v[84:85], v[48:49], v[20:21], -v[105:106]
	v_fma_f64 v[86:87], v[50:51], v[20:21], v[107:108]
	v_add_f64_e64 v[80:81], v[68:69], -v[97:98]
	v_add_f64_e64 v[82:83], v[70:71], -v[99:100]
	v_add_f64_e64 v[92:93], v[52:53], -v[101:102]
	v_add_f64_e64 v[94:95], v[54:55], -v[103:104]
	v_fma_f64 v[48:49], v[56:57], 2.0, -v[72:73]
	v_fma_f64 v[50:51], v[58:59], 2.0, -v[74:75]
	;; [unrolled: 1-line block ×6, first 2 shown]
	v_add_f64_e64 v[84:85], v[44:45], -v[84:85]
	v_add_f64_e64 v[86:87], v[46:47], -v[86:87]
	v_fma_f64 v[60:61], v[68:69], 2.0, -v[80:81]
	v_fma_f64 v[62:63], v[70:71], 2.0, -v[82:83]
	;; [unrolled: 1-line block ×4, first 2 shown]
	ds_store_b128 v7, v[48:51]
	ds_store_b128 v7, v[72:75] offset:272
	ds_store_b128 v5, v[56:59]
	scratch_store_b32 off, v5, off offset:220 ; 4-byte Folded Spill
	ds_store_b128 v5, v[76:79] offset:272
	ds_store_b128 v4, v[60:63]
	scratch_store_b32 off, v4, off offset:212 ; 4-byte Folded Spill
	;; [unrolled: 3-line block ×4, first 2 shown]
	ds_store_b128 v0, v[92:95] offset:272
	s_mov_b32 s1, exec_lo
	s_clause 0x2
	scratch_load_b128 v[25:28], off, off offset:12
	scratch_load_b128 v[29:32], off, off offset:28
	;; [unrolled: 1-line block ×3, first 2 shown]
	v_dual_mov_b32 v40, v14 :: v_dual_mov_b32 v39, v13
	v_dual_mov_b32 v38, v12 :: v_dual_mov_b32 v37, v11
	s_wait_alu 0xfffe
	s_and_b32 s2, s1, s0
	s_wait_alu 0xfffe
	s_mov_b32 exec_lo, s2
	s_cbranch_execz .LBB0_11
; %bb.10:
	scratch_load_b32 v0, off, off offset:60 ; 4-byte Folded Reload
	v_fma_f64 v[46:47], v[46:47], 2.0, -v[86:87]
	v_fma_f64 v[44:45], v[44:45], 2.0, -v[84:85]
	s_wait_loadcnt 0x0
	v_add_lshl_u32 v0, v193, v0, 4
	ds_store_b128 v0, v[44:47] offset:5440
	ds_store_b128 v0, v[84:87] offset:5712
.LBB0_11:
	s_or_b32 exec_lo, exec_lo, s1
	v_mad_co_u64_u32 v[76:77], null, 0xa0, v255, s[8:9]
	global_wb scope:SCOPE_SE
	s_wait_storecnt 0x0
	s_wait_loadcnt_dscnt 0x0
	s_barrier_signal -1
	s_barrier_wait -1
	global_inv scope:SCOPE_SE
	s_mov_b32 s26, 0xf8bb580b
	s_mov_b32 s20, 0x43842ef
	s_clause 0x5
	global_load_b128 v[56:59], v[76:77], off offset:272
	global_load_b128 v[0:3], v[76:77], off offset:416
	;; [unrolled: 1-line block ×6, first 2 shown]
	ds_load_b128 v[68:71], v211 offset:544
	ds_load_b128 v[72:75], v211 offset:5440
	ds_load_b128 v[88:91], v211
	global_load_b128 v[41:44], v[76:77], off offset:320
	ds_load_b128 v[78:81], v211 offset:1088
	ds_load_b128 v[92:95], v211 offset:1632
	;; [unrolled: 1-line block ×3, first 2 shown]
	s_mov_b32 s24, 0xbb3a28a1
	s_mov_b32 s28, 0xfd768dbf
	;; [unrolled: 1-line block ×19, first 2 shown]
	s_wait_alu 0xfffe
	s_mov_b32 s30, s28
	s_mov_b32 s35, 0x3fefac9e
	;; [unrolled: 1-line block ×5, first 2 shown]
	v_mov_b32_e32 v24, v255
	s_wait_loadcnt_dscnt 0x605
	v_mul_f64_e32 v[100:101], v[68:69], v[58:59]
	s_wait_loadcnt_dscnt 0x504
	v_mul_f64_e32 v[102:103], v[72:73], v[2:3]
	v_mul_f64_e32 v[104:105], v[74:75], v[2:3]
	scratch_store_b128 off, v[0:3], off offset:148 ; 16-byte Folded Spill
	s_wait_loadcnt_dscnt 0x402
	v_mul_f64_e32 v[106:107], v[80:81], v[22:23]
	s_wait_loadcnt 0x1
	scratch_store_b128 off, v[4:7], off offset:164 ; 16-byte Folded Spill
	v_mul_f64_e32 v[108:109], v[78:79], v[22:23]
	v_mul_f64_e32 v[82:83], v[70:71], v[58:59]
	s_clause 0x2
	scratch_store_b128 off, v[20:23], off offset:252
	scratch_store_b128 off, v[8:11], off offset:180
	;; [unrolled: 1-line block ×3, first 2 shown]
	v_fma_f64 v[112:113], v[70:71], v[56:57], v[100:101]
	v_fma_f64 v[128:129], v[74:75], v[0:1], v[102:103]
	v_fma_f64 v[130:131], v[72:73], v[0:1], -v[104:105]
	global_load_b128 v[0:3], v[76:77], off offset:368
	v_fma_f64 v[132:133], v[78:79], v[20:21], -v[106:107]
	s_wait_dscnt 0x1
	v_mul_f64_e32 v[78:79], v[94:95], v[14:15]
	ds_load_b128 v[100:103], v211 offset:4352
	s_wait_dscnt 0x1
	v_mul_f64_e32 v[72:73], v[96:97], v[10:11]
	v_fma_f64 v[134:135], v[80:81], v[20:21], v[108:109]
	v_fma_f64 v[110:111], v[68:69], v[56:57], -v[82:83]
	v_mul_f64_e32 v[74:75], v[98:99], v[10:11]
	v_add_f64_e32 v[177:178], v[90:91], v[112:113]
	v_add_f64_e32 v[126:127], v[112:113], v[128:129]
	v_fma_f64 v[144:145], v[92:93], v[12:13], -v[78:79]
	s_wait_dscnt 0x0
	v_mul_f64_e32 v[78:79], v[100:101], v[6:7]
	v_fma_f64 v[140:141], v[98:99], v[8:9], v[72:73]
	v_mul_f64_e32 v[72:73], v[92:93], v[14:15]
	v_add_f64_e32 v[175:176], v[88:89], v[110:111]
	v_fma_f64 v[142:143], v[96:97], v[8:9], -v[74:75]
	v_fma_f64 v[149:150], v[102:103], v[4:5], v[78:79]
	v_mul_f64_e32 v[78:79], v[102:103], v[6:7]
	v_fma_f64 v[146:147], v[94:95], v[12:13], v[72:73]
	v_add_f64_e32 v[102:103], v[110:111], v[130:131]
	v_add_f64_e32 v[185:186], v[132:133], v[142:143]
	v_add_f64_e64 v[189:190], v[132:133], -v[142:143]
	v_add_f64_e32 v[191:192], v[134:135], v[140:141]
	v_fma_f64 v[151:152], v[100:101], v[4:5], -v[78:79]
	ds_load_b128 v[78:81], v211 offset:2176
	ds_load_b128 v[92:95], v211 offset:2720
	s_wait_loadcnt 0x1
	scratch_store_b128 off, v[41:44], off offset:268 ; 16-byte Folded Spill
	v_add_f64_e32 v[201:202], v[146:147], v[149:150]
	v_mul_f64_e32 v[193:194], s[22:23], v[189:190]
	v_mul_f64_e32 v[232:233], s[24:25], v[189:190]
	s_wait_alu 0xfffe
	v_mul_f64_e32 v[248:249], s[30:31], v[189:190]
	s_wait_dscnt 0x1
	v_mul_f64_e32 v[82:83], v[80:81], v[43:44]
	v_add_f64_e32 v[195:196], v[144:145], v[151:152]
	v_add_f64_e64 v[199:200], v[144:145], -v[151:152]
	s_delay_alu instid0(VALU_DEP_3) | instskip(SKIP_1) | instid1(VALU_DEP_3)
	v_fma_f64 v[153:154], v[78:79], v[41:42], -v[82:83]
	v_mul_f64_e32 v[78:79], v[78:79], v[43:44]
	v_mul_f64_e32 v[203:204], s[20:21], v[199:200]
	;; [unrolled: 1-line block ×4, first 2 shown]
	s_delay_alu instid0(VALU_DEP_4)
	v_fma_f64 v[155:156], v[80:81], v[41:42], v[78:79]
	ds_load_b128 v[78:81], v211 offset:3808
	ds_load_b128 v[96:99], v211 offset:3264
	v_fma_f64 v[6:7], v[201:202], s[18:19], v[4:5]
	v_fma_f64 v[4:5], v[201:202], s[18:19], -v[4:5]
	s_wait_loadcnt_dscnt 0x1
	v_mul_f64_e32 v[82:83], v[80:81], v[2:3]
	scratch_store_b128 off, v[0:3], off offset:284 ; 16-byte Folded Spill
	v_fma_f64 v[157:158], v[78:79], v[0:1], -v[82:83]
	v_mul_f64_e32 v[78:79], v[78:79], v[2:3]
	s_delay_alu instid0(VALU_DEP_2) | instskip(NEXT) | instid1(VALU_DEP_2)
	v_add_f64_e32 v[207:208], v[153:154], v[157:158]
	v_fma_f64 v[159:160], v[80:81], v[0:1], v[78:79]
	s_clause 0x1
	global_load_b128 v[80:83], v[76:77], off offset:336
	global_load_b128 v[76:79], v[76:77], off offset:352
	v_add_f64_e64 v[212:213], v[153:154], -v[157:158]
	v_add_f64_e64 v[205:206], v[155:156], -v[159:160]
	v_add_f64_e32 v[214:215], v[155:156], v[159:160]
	s_delay_alu instid0(VALU_DEP_3)
	v_mul_f64_e32 v[216:217], s[24:25], v[212:213]
	v_mul_f64_e32 v[240:241], s[34:35], v[212:213]
	;; [unrolled: 1-line block ×7, first 2 shown]
	v_fma_f64 v[22:23], v[214:215], s[18:19], v[20:21]
	s_delay_alu instid0(VALU_DEP_2) | instskip(SKIP_3) | instid1(VALU_DEP_1)
	v_fma_f64 v[10:11], v[207:208], s[2:3], -v[8:9]
	v_fma_f64 v[8:9], v[207:208], s[2:3], v[8:9]
	s_wait_loadcnt 0x1
	v_mul_f64_e32 v[100:101], v[94:95], v[82:83]
	v_fma_f64 v[161:162], v[92:93], v[80:81], -v[100:101]
	v_mul_f64_e32 v[92:93], v[92:93], v[82:83]
	s_delay_alu instid0(VALU_DEP_1) | instskip(SKIP_2) | instid1(VALU_DEP_1)
	v_fma_f64 v[163:164], v[94:95], v[80:81], v[92:93]
	s_wait_loadcnt_dscnt 0x0
	v_mul_f64_e32 v[92:93], v[98:99], v[78:79]
	v_fma_f64 v[165:166], v[96:97], v[76:77], -v[92:93]
	v_mul_f64_e32 v[92:93], v[96:97], v[78:79]
	s_delay_alu instid0(VALU_DEP_2) | instskip(NEXT) | instid1(VALU_DEP_2)
	v_add_f64_e32 v[220:221], v[161:162], v[165:166]
	v_fma_f64 v[167:168], v[98:99], v[76:77], v[92:93]
	v_add_f64_e64 v[92:93], v[112:113], -v[128:129]
	v_add_f64_e64 v[224:225], v[161:162], -v[165:166]
	s_delay_alu instid0(VALU_DEP_3) | instskip(NEXT) | instid1(VALU_DEP_3)
	v_add_f64_e64 v[218:219], v[163:164], -v[167:168]
	v_mul_f64_e32 v[94:95], s[26:27], v[92:93]
	v_mul_f64_e32 v[96:97], s[22:23], v[92:93]
	v_mul_f64_e32 v[98:99], s[20:21], v[92:93]
	v_mul_f64_e32 v[100:101], s[24:25], v[92:93]
	v_mul_f64_e32 v[92:93], s[28:29], v[92:93]
	v_add_f64_e32 v[226:227], v[163:164], v[167:168]
	v_mul_f64_e32 v[228:229], s[28:29], v[224:225]
	v_mul_f64_e32 v[244:245], s[36:37], v[224:225]
	;; [unrolled: 1-line block ×3, first 2 shown]
	v_fma_f64 v[104:105], v[102:103], s[18:19], -v[94:95]
	v_fma_f64 v[94:95], v[102:103], s[18:19], v[94:95]
	v_fma_f64 v[106:107], v[102:103], s[10:11], -v[96:97]
	v_fma_f64 v[96:97], v[102:103], s[10:11], v[96:97]
	v_fma_f64 v[108:109], v[102:103], s[16:17], -v[98:99]
	v_fma_f64 v[98:99], v[102:103], s[16:17], v[98:99]
	v_fma_f64 v[114:115], v[102:103], s[8:9], -v[100:101]
	v_fma_f64 v[100:101], v[102:103], s[8:9], v[100:101]
	v_fma_f64 v[116:117], v[102:103], s[2:3], -v[92:93]
	v_fma_f64 v[92:93], v[102:103], s[2:3], v[92:93]
	v_add_f64_e64 v[102:103], v[110:111], -v[130:131]
	v_mul_f64_e32 v[242:243], s[36:37], v[218:219]
	v_mul_f64_e32 v[0:1], s[24:25], v[218:219]
	v_add_f64_e32 v[179:180], v[88:89], v[104:105]
	v_add_f64_e32 v[94:95], v[88:89], v[94:95]
	;; [unrolled: 1-line block ×7, first 2 shown]
	v_mul_f64_e32 v[118:119], s[26:27], v[102:103]
	v_mul_f64_e32 v[124:125], s[24:25], v[102:103]
	v_mul_f64_e32 v[120:121], s[22:23], v[102:103]
	v_mul_f64_e32 v[122:123], s[20:21], v[102:103]
	v_mul_f64_e32 v[102:103], s[28:29], v[102:103]
	v_fma_f64 v[2:3], v[220:221], s[8:9], -v[0:1]
	v_fma_f64 v[0:1], v[220:221], s[8:9], v[0:1]
	v_fma_f64 v[173:174], v[126:127], s[18:19], -v[118:119]
	v_fma_f64 v[169:170], v[126:127], s[8:9], v[124:125]
	;; [unrolled: 2-line block ×3, first 2 shown]
	v_fma_f64 v[138:139], v[126:127], s[16:17], v[122:123]
	v_fma_f64 v[120:121], v[126:127], s[10:11], -v[120:121]
	v_fma_f64 v[122:123], v[126:127], s[16:17], -v[122:123]
	v_fma_f64 v[171:172], v[126:127], s[2:3], v[102:103]
	v_fma_f64 v[102:103], v[126:127], s[2:3], -v[102:103]
	v_fma_f64 v[118:119], v[126:127], s[18:19], v[118:119]
	v_add_f64_e32 v[104:105], v[90:91], v[173:174]
	v_add_f64_e32 v[173:174], v[90:91], v[124:125]
	v_add_f64_e64 v[124:125], v[134:135], -v[140:141]
	v_add_f64_e32 v[110:111], v[90:91], v[136:137]
	v_add_f64_e32 v[126:127], v[90:91], v[138:139]
	;; [unrolled: 1-line block ×11, first 2 shown]
	v_mul_f64_e32 v[187:188], s[22:23], v[124:125]
	v_mul_f64_e32 v[230:231], s[24:25], v[124:125]
	;; [unrolled: 1-line block ×3, first 2 shown]
	s_mov_b32 s23, 0x3fed1bb4
	s_wait_alu 0xfffe
	v_mul_f64_e32 v[252:253], s[22:23], v[199:200]
	v_mul_f64_e32 v[12:13], s[22:23], v[218:219]
	v_fma_f64 v[92:93], v[185:186], s[10:11], v[187:188]
	s_delay_alu instid0(VALU_DEP_2) | instskip(NEXT) | instid1(VALU_DEP_2)
	v_fma_f64 v[14:15], v[220:221], s[10:11], -v[12:13]
	v_add_f64_e32 v[92:93], v[92:93], v[94:95]
	v_fma_f64 v[94:95], v[191:192], s[10:11], -v[193:194]
	s_delay_alu instid0(VALU_DEP_1) | instskip(SKIP_1) | instid1(VALU_DEP_1)
	v_add_f64_e32 v[94:95], v[94:95], v[104:105]
	v_add_f64_e64 v[104:105], v[146:147], -v[149:150]
	v_mul_f64_e32 v[197:198], s[20:21], v[104:105]
	v_mul_f64_e32 v[234:235], s[30:31], v[104:105]
	;; [unrolled: 1-line block ×3, first 2 shown]
	s_delay_alu instid0(VALU_DEP_3) | instskip(NEXT) | instid1(VALU_DEP_1)
	v_fma_f64 v[112:113], v[195:196], s[16:17], v[197:198]
	v_add_f64_e32 v[92:93], v[112:113], v[92:93]
	v_fma_f64 v[112:113], v[201:202], s[16:17], -v[203:204]
	s_delay_alu instid0(VALU_DEP_1) | instskip(SKIP_1) | instid1(VALU_DEP_1)
	v_add_f64_e32 v[94:95], v[112:113], v[94:95]
	v_fma_f64 v[112:113], v[207:208], s[8:9], v[209:210]
	v_add_f64_e32 v[92:93], v[112:113], v[92:93]
	v_fma_f64 v[112:113], v[214:215], s[8:9], -v[216:217]
	s_delay_alu instid0(VALU_DEP_1) | instskip(SKIP_1) | instid1(VALU_DEP_1)
	v_add_f64_e32 v[94:95], v[112:113], v[94:95]
	v_fma_f64 v[112:113], v[220:221], s[2:3], v[222:223]
	v_add_f64_e32 v[92:93], v[112:113], v[92:93]
	v_fma_f64 v[112:113], v[226:227], s[2:3], -v[228:229]
	s_delay_alu instid0(VALU_DEP_1) | instskip(SKIP_1) | instid1(VALU_DEP_1)
	v_add_f64_e32 v[94:95], v[112:113], v[94:95]
	v_fma_f64 v[112:113], v[185:186], s[8:9], -v[230:231]
	v_add_f64_e32 v[106:107], v[112:113], v[106:107]
	v_fma_f64 v[112:113], v[191:192], s[8:9], v[232:233]
	s_delay_alu instid0(VALU_DEP_1) | instskip(SKIP_1) | instid1(VALU_DEP_1)
	v_add_f64_e32 v[110:111], v[112:113], v[110:111]
	v_fma_f64 v[112:113], v[195:196], s[2:3], -v[234:235]
	v_add_f64_e32 v[106:107], v[112:113], v[106:107]
	v_fma_f64 v[112:113], v[201:202], s[2:3], v[236:237]
	s_delay_alu instid0(VALU_DEP_1) | instskip(SKIP_1) | instid1(VALU_DEP_1)
	v_add_f64_e32 v[110:111], v[112:113], v[110:111]
	;; [unrolled: 5-line block ×3, first 2 shown]
	v_fma_f64 v[112:113], v[220:221], s[18:19], -v[242:243]
	v_add_f64_e32 v[112:113], v[112:113], v[106:107]
	v_fma_f64 v[106:107], v[226:227], s[18:19], v[244:245]
	s_delay_alu instid0(VALU_DEP_1) | instskip(SKIP_2) | instid1(VALU_DEP_2)
	v_add_f64_e32 v[114:115], v[106:107], v[110:111]
	v_fma_f64 v[106:107], v[185:186], s[2:3], -v[246:247]
	v_fma_f64 v[110:111], v[195:196], s[10:11], -v[250:251]
	v_add_f64_e32 v[106:107], v[106:107], v[108:109]
	v_fma_f64 v[108:109], v[191:192], s[2:3], v[248:249]
	s_delay_alu instid0(VALU_DEP_2) | instskip(NEXT) | instid1(VALU_DEP_2)
	v_add_f64_e32 v[106:107], v[110:111], v[106:107]
	v_add_f64_e32 v[108:109], v[108:109], v[126:127]
	v_fma_f64 v[110:111], v[201:202], s[10:11], v[252:253]
	s_delay_alu instid0(VALU_DEP_1) | instskip(SKIP_1) | instid1(VALU_DEP_2)
	v_add_f64_e32 v[108:109], v[110:111], v[108:109]
	v_fma_f64 v[110:111], v[207:208], s[18:19], -v[254:255]
	v_add_f64_e32 v[22:23], v[22:23], v[108:109]
	s_delay_alu instid0(VALU_DEP_2) | instskip(NEXT) | instid1(VALU_DEP_1)
	v_add_f64_e32 v[106:107], v[110:111], v[106:107]
	v_add_f64_e32 v[116:117], v[2:3], v[106:107]
	v_mul_f64_e32 v[2:3], s[24:25], v[224:225]
	s_delay_alu instid0(VALU_DEP_1) | instskip(SKIP_1) | instid1(VALU_DEP_2)
	v_fma_f64 v[106:107], v[226:227], s[8:9], v[2:3]
	v_fma_f64 v[2:3], v[226:227], s[8:9], -v[2:3]
	v_add_f64_e32 v[118:119], v[106:107], v[22:23]
	v_mul_f64_e32 v[22:23], s[34:35], v[124:125]
	s_delay_alu instid0(VALU_DEP_1) | instskip(NEXT) | instid1(VALU_DEP_1)
	v_fma_f64 v[106:107], v[185:186], s[16:17], -v[22:23]
	v_add_f64_e32 v[106:107], v[106:107], v[136:137]
	v_mul_f64_e32 v[136:137], s[34:35], v[189:190]
	s_delay_alu instid0(VALU_DEP_1) | instskip(NEXT) | instid1(VALU_DEP_1)
	v_fma_f64 v[108:109], v[191:192], s[16:17], v[136:137]
	v_add_f64_e32 v[108:109], v[108:109], v[138:139]
	v_mul_f64_e32 v[138:139], s[26:27], v[104:105]
	v_mul_f64_e32 v[104:105], s[24:25], v[104:105]
	s_delay_alu instid0(VALU_DEP_3) | instskip(NEXT) | instid1(VALU_DEP_3)
	v_add_f64_e32 v[6:7], v[6:7], v[108:109]
	v_fma_f64 v[110:111], v[195:196], s[18:19], -v[138:139]
	s_delay_alu instid0(VALU_DEP_1) | instskip(NEXT) | instid1(VALU_DEP_1)
	v_add_f64_e32 v[106:107], v[110:111], v[106:107]
	v_add_f64_e32 v[10:11], v[10:11], v[106:107]
	v_mul_f64_e32 v[106:107], s[28:29], v[212:213]
	s_delay_alu instid0(VALU_DEP_2) | instskip(NEXT) | instid1(VALU_DEP_2)
	v_add_f64_e32 v[120:121], v[14:15], v[10:11]
	v_fma_f64 v[108:109], v[214:215], s[2:3], v[106:107]
	v_mul_f64_e32 v[10:11], s[22:23], v[224:225]
	s_delay_alu instid0(VALU_DEP_2) | instskip(NEXT) | instid1(VALU_DEP_2)
	v_add_f64_e32 v[6:7], v[108:109], v[6:7]
	v_fma_f64 v[14:15], v[226:227], s[10:11], v[10:11]
	v_mul_f64_e32 v[108:109], s[36:37], v[189:190]
	v_mul_f64_e32 v[189:190], s[22:23], v[212:213]
	v_fma_f64 v[10:11], v[226:227], s[10:11], -v[10:11]
	s_delay_alu instid0(VALU_DEP_4) | instskip(SKIP_3) | instid1(VALU_DEP_3)
	v_add_f64_e32 v[122:123], v[14:15], v[6:7]
	v_mul_f64_e32 v[6:7], s[36:37], v[124:125]
	v_fma_f64 v[110:111], v[191:192], s[18:19], v[108:109]
	v_fma_f64 v[124:125], v[195:196], s[8:9], -v[104:105]
	v_fma_f64 v[14:15], v[185:186], s[18:19], -v[6:7]
	s_delay_alu instid0(VALU_DEP_3)
	v_add_f64_e32 v[110:111], v[110:111], v[171:172]
	v_mul_f64_e32 v[171:172], s[22:23], v[205:206]
	v_mul_f64_e32 v[205:206], s[20:21], v[224:225]
	v_fma_f64 v[6:7], v[185:186], s[18:19], v[6:7]
	v_add_f64_e32 v[14:15], v[14:15], v[169:170]
	v_mul_f64_e32 v[169:170], s[24:25], v[199:200]
	v_mul_f64_e32 v[199:200], s[20:21], v[218:219]
	s_delay_alu instid0(VALU_DEP_4) | instskip(SKIP_3) | instid1(VALU_DEP_3)
	v_add_f64_e32 v[6:7], v[6:7], v[88:89]
	v_fma_f64 v[88:89], v[195:196], s[8:9], v[104:105]
	v_add_f64_e32 v[14:15], v[124:125], v[14:15]
	v_fma_f64 v[124:125], v[201:202], s[8:9], v[169:170]
	v_add_f64_e32 v[6:7], v[88:89], v[6:7]
	v_fma_f64 v[88:89], v[201:202], s[8:9], -v[169:170]
	s_delay_alu instid0(VALU_DEP_3) | instskip(SKIP_1) | instid1(VALU_DEP_1)
	v_add_f64_e32 v[110:111], v[124:125], v[110:111]
	v_fma_f64 v[124:125], v[207:208], s[10:11], -v[171:172]
	v_add_f64_e32 v[14:15], v[124:125], v[14:15]
	v_fma_f64 v[124:125], v[214:215], s[10:11], v[189:190]
	s_delay_alu instid0(VALU_DEP_1) | instskip(SKIP_1) | instid1(VALU_DEP_1)
	v_add_f64_e32 v[110:111], v[124:125], v[110:111]
	v_fma_f64 v[124:125], v[220:221], s[16:17], -v[199:200]
	v_add_f64_e32 v[124:125], v[124:125], v[14:15]
	v_fma_f64 v[14:15], v[226:227], s[16:17], v[205:206]
	s_delay_alu instid0(VALU_DEP_1) | instskip(SKIP_1) | instid1(VALU_DEP_1)
	v_add_f64_e32 v[126:127], v[14:15], v[110:111]
	v_fma_f64 v[14:15], v[191:192], s[18:19], -v[108:109]
	v_add_f64_e32 v[14:15], v[14:15], v[102:103]
	v_fma_f64 v[102:103], v[226:227], s[16:17], -v[205:206]
	s_delay_alu instid0(VALU_DEP_2) | instskip(SKIP_1) | instid1(VALU_DEP_1)
	v_add_f64_e32 v[14:15], v[88:89], v[14:15]
	v_fma_f64 v[88:89], v[207:208], s[10:11], v[171:172]
	v_add_f64_e32 v[6:7], v[88:89], v[6:7]
	v_fma_f64 v[88:89], v[214:215], s[10:11], -v[189:190]
	s_delay_alu instid0(VALU_DEP_1) | instskip(SKIP_1) | instid1(VALU_DEP_2)
	v_add_f64_e32 v[14:15], v[88:89], v[14:15]
	v_fma_f64 v[88:89], v[220:221], s[16:17], v[199:200]
	v_add_f64_e32 v[110:111], v[102:103], v[14:15]
	s_delay_alu instid0(VALU_DEP_2) | instskip(SKIP_3) | instid1(VALU_DEP_3)
	v_add_f64_e32 v[108:109], v[88:89], v[6:7]
	v_fma_f64 v[6:7], v[185:186], s[16:17], v[22:23]
	v_fma_f64 v[14:15], v[191:192], s[16:17], -v[136:137]
	v_fma_f64 v[22:23], v[195:196], s[18:19], v[138:139]
	v_add_f64_e32 v[6:7], v[6:7], v[100:101]
	s_delay_alu instid0(VALU_DEP_3) | instskip(NEXT) | instid1(VALU_DEP_2)
	v_add_f64_e32 v[14:15], v[14:15], v[173:174]
	v_add_f64_e32 v[6:7], v[22:23], v[6:7]
	s_delay_alu instid0(VALU_DEP_2) | instskip(NEXT) | instid1(VALU_DEP_2)
	v_add_f64_e32 v[4:5], v[4:5], v[14:15]
	v_add_f64_e32 v[6:7], v[8:9], v[6:7]
	v_fma_f64 v[8:9], v[214:215], s[2:3], -v[106:107]
	s_delay_alu instid0(VALU_DEP_1) | instskip(SKIP_1) | instid1(VALU_DEP_2)
	v_add_f64_e32 v[4:5], v[8:9], v[4:5]
	v_fma_f64 v[8:9], v[220:221], s[10:11], v[12:13]
	v_add_f64_e32 v[106:107], v[10:11], v[4:5]
	v_fma_f64 v[4:5], v[185:186], s[2:3], v[246:247]
	s_delay_alu instid0(VALU_DEP_3) | instskip(SKIP_4) | instid1(VALU_DEP_4)
	v_add_f64_e32 v[104:105], v[8:9], v[6:7]
	v_fma_f64 v[6:7], v[191:192], s[2:3], -v[248:249]
	v_fma_f64 v[8:9], v[195:196], s[10:11], v[250:251]
	v_fma_f64 v[10:11], v[214:215], s[8:9], v[216:217]
	v_add_f64_e32 v[4:5], v[4:5], v[98:99]
	v_add_f64_e32 v[6:7], v[6:7], v[181:182]
	s_delay_alu instid0(VALU_DEP_2) | instskip(SKIP_1) | instid1(VALU_DEP_1)
	v_add_f64_e32 v[4:5], v[8:9], v[4:5]
	v_fma_f64 v[8:9], v[201:202], s[10:11], -v[252:253]
	v_add_f64_e32 v[6:7], v[8:9], v[6:7]
	v_fma_f64 v[8:9], v[207:208], s[18:19], v[254:255]
	v_mov_b32_e32 v255, v24
	s_delay_alu instid0(VALU_DEP_2) | instskip(SKIP_1) | instid1(VALU_DEP_2)
	v_add_f64_e32 v[4:5], v[8:9], v[4:5]
	v_fma_f64 v[8:9], v[214:215], s[18:19], -v[20:21]
	v_add_f64_e32 v[100:101], v[0:1], v[4:5]
	s_delay_alu instid0(VALU_DEP_2) | instskip(SKIP_3) | instid1(VALU_DEP_4)
	v_add_f64_e32 v[6:7], v[8:9], v[6:7]
	v_fma_f64 v[0:1], v[185:186], s[8:9], v[230:231]
	v_fma_f64 v[4:5], v[195:196], s[2:3], v[234:235]
	v_fma_f64 v[8:9], v[207:208], s[8:9], -v[209:210]
	v_add_f64_e32 v[102:103], v[2:3], v[6:7]
	s_delay_alu instid0(VALU_DEP_4) | instskip(SKIP_2) | instid1(VALU_DEP_3)
	v_add_f64_e32 v[0:1], v[0:1], v[96:97]
	v_fma_f64 v[2:3], v[191:192], s[8:9], -v[232:233]
	v_fma_f64 v[6:7], v[226:227], s[18:19], -v[244:245]
	v_add_f64_e32 v[0:1], v[4:5], v[0:1]
	s_delay_alu instid0(VALU_DEP_3) | instskip(SKIP_1) | instid1(VALU_DEP_1)
	v_add_f64_e32 v[2:3], v[2:3], v[183:184]
	v_fma_f64 v[4:5], v[201:202], s[2:3], -v[236:237]
	v_add_f64_e32 v[2:3], v[4:5], v[2:3]
	v_fma_f64 v[4:5], v[207:208], s[16:17], v[238:239]
	s_delay_alu instid0(VALU_DEP_1) | instskip(SKIP_1) | instid1(VALU_DEP_1)
	v_add_f64_e32 v[0:1], v[4:5], v[0:1]
	v_fma_f64 v[4:5], v[214:215], s[16:17], -v[240:241]
	v_add_f64_e32 v[2:3], v[4:5], v[2:3]
	v_fma_f64 v[4:5], v[220:221], s[18:19], v[242:243]
	s_delay_alu instid0(VALU_DEP_2) | instskip(NEXT) | instid1(VALU_DEP_2)
	v_add_f64_e32 v[98:99], v[6:7], v[2:3]
	v_add_f64_e32 v[96:97], v[4:5], v[0:1]
	v_fma_f64 v[0:1], v[185:186], s[10:11], -v[187:188]
	v_fma_f64 v[4:5], v[195:196], s[16:17], -v[197:198]
	v_fma_f64 v[2:3], v[191:192], s[10:11], v[193:194]
	v_fma_f64 v[6:7], v[201:202], s[16:17], v[203:204]
	s_delay_alu instid0(VALU_DEP_4) | instskip(NEXT) | instid1(VALU_DEP_3)
	v_add_f64_e32 v[0:1], v[0:1], v[179:180]
	v_add_f64_e32 v[2:3], v[2:3], v[90:91]
	s_delay_alu instid0(VALU_DEP_2) | instskip(SKIP_1) | instid1(VALU_DEP_3)
	v_add_f64_e32 v[0:1], v[4:5], v[0:1]
	v_fma_f64 v[4:5], v[220:221], s[2:3], -v[222:223]
	v_add_f64_e32 v[2:3], v[6:7], v[2:3]
	v_fma_f64 v[6:7], v[226:227], s[2:3], v[228:229]
	s_delay_alu instid0(VALU_DEP_4) | instskip(NEXT) | instid1(VALU_DEP_3)
	v_add_f64_e32 v[0:1], v[8:9], v[0:1]
	v_add_f64_e32 v[2:3], v[10:11], v[2:3]
	s_delay_alu instid0(VALU_DEP_2) | instskip(SKIP_1) | instid1(VALU_DEP_3)
	v_add_f64_e32 v[136:137], v[4:5], v[0:1]
	v_add_f64_e32 v[0:1], v[175:176], v[132:133]
	;; [unrolled: 1-line block ×4, first 2 shown]
	s_delay_alu instid0(VALU_DEP_3) | instskip(NEXT) | instid1(VALU_DEP_2)
	v_add_f64_e32 v[0:1], v[0:1], v[144:145]
	v_add_f64_e32 v[2:3], v[2:3], v[146:147]
	s_delay_alu instid0(VALU_DEP_2) | instskip(NEXT) | instid1(VALU_DEP_2)
	v_add_f64_e32 v[0:1], v[0:1], v[153:154]
	v_add_f64_e32 v[2:3], v[2:3], v[155:156]
	s_delay_alu instid0(VALU_DEP_2) | instskip(NEXT) | instid1(VALU_DEP_2)
	;; [unrolled: 3-line block ×6, first 2 shown]
	v_add_f64_e32 v[0:1], v[0:1], v[142:143]
	v_add_f64_e32 v[2:3], v[2:3], v[140:141]
	s_delay_alu instid0(VALU_DEP_2)
	v_add_f64_e32 v[88:89], v[0:1], v[130:131]
	scratch_load_b32 v0, off, off           ; 4-byte Folded Reload
	v_add_f64_e32 v[90:91], v[2:3], v[128:129]
	s_wait_loadcnt 0x0
	v_lshl_add_u32 v212, v255, 4, v0
	ds_store_b128 v212, v[112:115] offset:1088
	ds_store_b128 v212, v[116:119] offset:1632
	;; [unrolled: 1-line block ×10, first 2 shown]
	ds_store_b128 v212, v[88:91]
	global_wb scope:SCOPE_SE
	s_wait_storecnt_dscnt 0x0
	s_barrier_signal -1
	s_barrier_wait -1
	global_inv scope:SCOPE_SE
	s_and_saveexec_b32 s1, vcc_lo
	s_cbranch_execz .LBB0_13
; %bb.12:
	global_load_b128 v[128:131], v148, s[12:13] offset:5984
	s_add_nc_u64 s[2:3], s[12:13], 0x1760
	s_clause 0x9
	global_load_b128 v[132:135], v148, s[2:3] offset:352
	global_load_b128 v[140:143], v148, s[2:3] offset:704
	;; [unrolled: 1-line block ×10, first 2 shown]
	ds_load_b128 v[177:180], v212
	ds_load_b128 v[181:184], v212 offset:352
	ds_load_b128 v[185:188], v212 offset:704
	global_load_b128 v[189:192], v148, s[2:3] offset:3872
	s_wait_loadcnt_dscnt 0xa01
	v_mul_f64_e32 v[4:5], v[183:184], v[134:135]
	v_mul_f64_e32 v[6:7], v[181:182], v[134:135]
	;; [unrolled: 1-line block ×4, first 2 shown]
	s_delay_alu instid0(VALU_DEP_4) | instskip(NEXT) | instid1(VALU_DEP_4)
	v_fma_f64 v[181:182], v[181:182], v[132:133], -v[4:5]
	v_fma_f64 v[183:184], v[183:184], v[132:133], v[6:7]
	ds_load_b128 v[132:135], v212 offset:1408
	v_fma_f64 v[177:178], v[177:178], v[128:129], -v[0:1]
	v_fma_f64 v[179:180], v[179:180], v[128:129], v[2:3]
	ds_load_b128 v[128:131], v212 offset:1056
	s_wait_loadcnt_dscnt 0x902
	v_mul_f64_e32 v[0:1], v[187:188], v[142:143]
	v_mul_f64_e32 v[2:3], v[185:186], v[142:143]
	s_wait_loadcnt_dscnt 0x800
	v_mul_f64_e32 v[4:5], v[130:131], v[146:147]
	v_mul_f64_e32 v[6:7], v[128:129], v[146:147]
	s_delay_alu instid0(VALU_DEP_4) | instskip(NEXT) | instid1(VALU_DEP_4)
	v_fma_f64 v[185:186], v[185:186], v[140:141], -v[0:1]
	v_fma_f64 v[187:188], v[187:188], v[140:141], v[2:3]
	ds_load_b128 v[140:143], v212 offset:1760
	s_wait_loadcnt 0x7
	v_mul_f64_e32 v[0:1], v[134:135], v[151:152]
	v_mul_f64_e32 v[2:3], v[132:133], v[151:152]
	v_fma_f64 v[128:129], v[128:129], v[144:145], -v[4:5]
	v_fma_f64 v[130:131], v[130:131], v[144:145], v[6:7]
	ds_load_b128 v[144:147], v212 offset:2112
	s_wait_loadcnt_dscnt 0x601
	v_mul_f64_e32 v[4:5], v[142:143], v[155:156]
	v_mul_f64_e32 v[6:7], v[140:141], v[155:156]
	v_fma_f64 v[132:133], v[132:133], v[149:150], -v[0:1]
	v_fma_f64 v[134:135], v[134:135], v[149:150], v[2:3]
	ds_load_b128 v[149:152], v212 offset:2464
	s_wait_loadcnt_dscnt 0x501
	;; [unrolled: 6-line block ×4, first 2 shown]
	v_mul_f64_e32 v[0:1], v[155:156], v[167:168]
	v_mul_f64_e32 v[2:3], v[153:154], v[167:168]
	v_fma_f64 v[149:150], v[149:150], v[161:162], -v[4:5]
	v_fma_f64 v[151:152], v[151:152], v[161:162], v[6:7]
	s_wait_loadcnt_dscnt 0x200
	v_mul_f64_e32 v[4:5], v[159:160], v[171:172]
	v_mul_f64_e32 v[6:7], v[157:158], v[171:172]
	v_fma_f64 v[153:154], v[153:154], v[165:166], -v[0:1]
	v_fma_f64 v[155:156], v[155:156], v[165:166], v[2:3]
	ds_load_b128 v[161:164], v212 offset:3520
	ds_load_b128 v[165:168], v212 offset:3872
	v_fma_f64 v[157:158], v[157:158], v[169:170], -v[4:5]
	v_fma_f64 v[159:160], v[159:160], v[169:170], v[6:7]
	s_wait_loadcnt_dscnt 0x101
	v_mul_f64_e32 v[0:1], v[163:164], v[175:176]
	global_load_b128 v[169:172], v148, s[2:3] offset:4224
	v_mul_f64_e32 v[2:3], v[161:162], v[175:176]
	v_fma_f64 v[161:162], v[161:162], v[173:174], -v[0:1]
	s_wait_loadcnt_dscnt 0x100
	v_mul_f64_e32 v[0:1], v[167:168], v[191:192]
	s_delay_alu instid0(VALU_DEP_3) | instskip(SKIP_3) | instid1(VALU_DEP_2)
	v_fma_f64 v[163:164], v[163:164], v[173:174], v[2:3]
	global_load_b128 v[173:176], v148, s[2:3] offset:4576
	v_mul_f64_e32 v[2:3], v[165:166], v[191:192]
	v_fma_f64 v[165:166], v[165:166], v[189:190], -v[0:1]
	v_fma_f64 v[167:168], v[167:168], v[189:190], v[2:3]
	ds_load_b128 v[189:192], v212 offset:4224
	ds_load_b128 v[193:196], v212 offset:4576
	s_wait_loadcnt_dscnt 0x101
	v_mul_f64_e32 v[0:1], v[191:192], v[171:172]
	v_mul_f64_e32 v[2:3], v[189:190], v[171:172]
	s_delay_alu instid0(VALU_DEP_2) | instskip(NEXT) | instid1(VALU_DEP_2)
	v_fma_f64 v[189:190], v[189:190], v[169:170], -v[0:1]
	v_fma_f64 v[191:192], v[191:192], v[169:170], v[2:3]
	s_wait_loadcnt_dscnt 0x0
	v_mul_f64_e32 v[0:1], v[195:196], v[175:176]
	v_mul_f64_e32 v[2:3], v[193:194], v[175:176]
	s_delay_alu instid0(VALU_DEP_2) | instskip(NEXT) | instid1(VALU_DEP_2)
	v_fma_f64 v[169:170], v[193:194], v[173:174], -v[0:1]
	v_fma_f64 v[171:172], v[195:196], v[173:174], v[2:3]
	s_clause 0x1
	global_load_b128 v[173:176], v148, s[2:3] offset:4928
	global_load_b128 v[193:196], v148, s[2:3] offset:5280
	ds_load_b128 v[197:200], v212 offset:4928
	ds_load_b128 v[201:204], v212 offset:5280
	s_wait_loadcnt_dscnt 0x101
	v_mul_f64_e32 v[0:1], v[199:200], v[175:176]
	v_mul_f64_e32 v[2:3], v[197:198], v[175:176]
	s_delay_alu instid0(VALU_DEP_2) | instskip(NEXT) | instid1(VALU_DEP_2)
	v_fma_f64 v[197:198], v[197:198], v[173:174], -v[0:1]
	v_fma_f64 v[199:200], v[199:200], v[173:174], v[2:3]
	s_wait_loadcnt_dscnt 0x0
	v_mul_f64_e32 v[0:1], v[203:204], v[195:196]
	v_mul_f64_e32 v[2:3], v[201:202], v[195:196]
	s_delay_alu instid0(VALU_DEP_2) | instskip(NEXT) | instid1(VALU_DEP_2)
	v_fma_f64 v[173:174], v[201:202], v[193:194], -v[0:1]
	v_fma_f64 v[175:176], v[203:204], v[193:194], v[2:3]
	global_load_b128 v[193:196], v148, s[2:3] offset:5632
	ds_load_b128 v[201:204], v212 offset:5632
	s_wait_loadcnt_dscnt 0x0
	v_mul_f64_e32 v[0:1], v[203:204], v[195:196]
	v_mul_f64_e32 v[2:3], v[201:202], v[195:196]
	s_delay_alu instid0(VALU_DEP_2) | instskip(NEXT) | instid1(VALU_DEP_2)
	v_fma_f64 v[201:202], v[201:202], v[193:194], -v[0:1]
	v_fma_f64 v[203:204], v[203:204], v[193:194], v[2:3]
	ds_store_b128 v212, v[177:180]
	ds_store_b128 v212, v[181:184] offset:352
	ds_store_b128 v212, v[185:188] offset:704
	;; [unrolled: 1-line block ×16, first 2 shown]
.LBB0_13:
	s_wait_alu 0xfffe
	s_or_b32 exec_lo, exec_lo, s1
	global_wb scope:SCOPE_SE
	s_wait_dscnt 0x0
	s_barrier_signal -1
	s_barrier_wait -1
	global_inv scope:SCOPE_SE
	s_and_saveexec_b32 s1, vcc_lo
	s_cbranch_execz .LBB0_15
; %bb.14:
	ds_load_b128 v[88:91], v212
	ds_load_b128 v[136:139], v212 offset:352
	ds_load_b128 v[112:115], v212 offset:704
	;; [unrolled: 1-line block ×16, first 2 shown]
.LBB0_15:
	s_wait_alu 0xfffe
	s_or_b32 exec_lo, exec_lo, s1
	s_wait_dscnt 0x0
	v_add_f64_e64 v[47:48], v[138:139], -v[27:28]
	s_mov_b32 s10, 0x6c9a05f6
	s_mov_b32 s11, 0xbfe9895b
	v_add_f64_e32 v[221:222], v[136:137], v[25:26]
	v_add_f64_e64 v[41:42], v[114:115], -v[31:32]
	s_mov_b32 s2, 0x6ed5f1bb
	s_mov_b32 s16, 0x923c349f
	;; [unrolled: 1-line block ×4, first 2 shown]
	v_add_f64_e32 v[140:141], v[112:113], v[29:30]
	v_add_f64_e32 v[231:232], v[138:139], v[27:28]
	s_mov_b32 s8, 0xc61f0d01
	s_mov_b32 s9, 0xbfd183b1
	v_add_f64_e64 v[233:234], v[136:137], -v[25:26]
	v_add_f64_e32 v[142:143], v[114:115], v[31:32]
	v_add_f64_e64 v[51:52], v[112:113], -v[29:30]
	v_add_f64_e64 v[45:46], v[118:119], -v[35:36]
	s_mov_b32 s22, 0x5d8e7cdc
	s_mov_b32 s23, 0xbfd71e95
	v_add_f64_e32 v[144:145], v[116:117], v[33:34]
	v_add_f64_e32 v[146:147], v[118:119], v[35:36]
	s_mov_b32 s18, 0x370991
	s_mov_b32 s19, 0x3fedd6d0
	v_add_f64_e64 v[62:63], v[116:117], -v[33:34]
	v_add_f64_e64 v[43:44], v[122:123], -v[39:40]
	s_mov_b32 s26, 0x4363dd80
	s_mov_b32 s27, 0xbfe0d888
	v_add_f64_e32 v[149:150], v[120:121], v[37:38]
	v_add_f64_e32 v[155:156], v[122:123], v[39:40]
	s_mov_b32 s20, 0x910ea3b9
	s_mov_b32 s21, 0xbfeb34fa
	v_add_f64_e64 v[64:65], v[120:121], -v[37:38]
	v_add_f64_e64 v[227:228], v[126:127], -v[18:19]
	s_mov_b32 s34, 0xeb564b22
	s_mov_b32 s35, 0xbfefdd0d
	;; [unrolled: 1-line block ×3, first 2 shown]
	s_wait_alu 0xfffe
	s_mov_b32 s40, s34
	v_add_f64_e32 v[159:160], v[124:125], v[16:17]
	v_mul_f64_e32 v[12:13], s[10:11], v[47:48]
	v_add_f64_e32 v[165:166], v[126:127], v[18:19]
	s_mov_b32 s24, 0x3259b75e
	s_mov_b32 s25, 0x3fb79ee6
	v_mul_f64_e32 v[6:7], s[16:17], v[41:42]
	v_add_f64_e64 v[161:162], v[124:125], -v[16:17]
	v_add_f64_e64 v[203:204], v[110:111], -v[86:87]
	s_mov_b32 s44, 0x2a9d6da3
	s_mov_b32 s45, 0xbfe58eea
	v_add_f64_e32 v[167:168], v[108:109], v[84:85]
	v_mul_f64_e32 v[235:236], s[2:3], v[231:232]
	v_add_f64_e32 v[171:172], v[110:111], v[86:87]
	s_mov_b32 s28, 0x75d4884
	s_mov_b32 s29, 0x3fe7a5f6
	v_mul_f64_e32 v[14:15], s[8:9], v[142:143]
	v_add_f64_e64 v[163:164], v[108:109], -v[84:85]
	v_mul_f64_e32 v[10:11], s[22:23], v[45:46]
	v_add_f64_e64 v[60:61], v[106:107], -v[94:95]
	s_mov_b32 s38, 0xacd6c6b4
	s_mov_b32 s39, 0xbfc7851a
	v_mul_f64_e32 v[20:21], s[18:19], v[146:147]
	v_add_f64_e32 v[173:174], v[104:105], v[92:93]
	v_add_f64_e32 v[175:176], v[106:107], v[94:95]
	s_mov_b32 s30, 0x7faef3
	v_mul_f64_e32 v[22:23], s[26:27], v[43:44]
	s_mov_b32 s31, 0xbfef7484
	v_add_f64_e64 v[179:180], v[104:105], -v[92:93]
	v_add_f64_e64 v[66:67], v[102:103], -v[98:99]
	v_mul_f64_e32 v[151:152], s[20:21], v[155:156]
	s_mov_b32 s46, 0x7c9e640b
	s_mov_b32 s47, 0x3feca52d
	v_add_f64_e32 v[177:178], v[100:101], v[96:97]
	s_wait_alu 0xfffe
	v_mul_f64_e32 v[153:154], s[40:41], v[227:228]
	v_add_f64_e32 v[183:184], v[102:103], v[98:99]
	s_mov_b32 s36, 0x2b2883cd
	s_mov_b32 s37, 0x3fdc86fa
	v_add_f64_e64 v[181:182], v[100:101], -v[96:97]
	v_mul_f64_e32 v[8:9], s[26:27], v[47:48]
	v_fma_f64 v[0:1], v[221:222], s[2:3], -v[12:13]
	v_mul_f64_e32 v[70:71], s[24:25], v[165:166]
	v_mul_f64_e32 v[237:238], s[46:47], v[41:42]
	;; [unrolled: 1-line block ×3, first 2 shown]
	v_fma_f64 v[2:3], v[140:141], s[8:9], -v[6:7]
	s_wait_alu 0xfffe
	v_mul_f64_e32 v[241:242], s[36:37], v[142:143]
	v_mul_f64_e32 v[157:158], s[44:45], v[203:204]
	;; [unrolled: 1-line block ×4, first 2 shown]
	s_mov_b32 s49, 0x3fe9895b
	s_mov_b32 s48, s10
	v_mul_f64_e32 v[189:190], s[28:29], v[171:172]
	s_wait_alu 0xfffe
	v_mul_f64_e32 v[243:244], s[48:49], v[43:44]
	v_mul_f64_e32 v[169:170], s[2:3], v[155:156]
	v_fma_f64 v[4:5], v[51:52], s[16:17], v[14:15]
	v_mul_f64_e32 v[247:248], s[22:23], v[227:228]
	v_mul_f64_e32 v[185:186], s[18:19], v[165:166]
	;; [unrolled: 1-line block ×5, first 2 shown]
	s_mov_b32 s43, 0x3fe58eea
	s_mov_b32 s42, s44
	v_mul_f64_e32 v[72:73], s[30:31], v[175:176]
	s_wait_alu 0xfffe
	v_mul_f64_e32 v[251:252], s[42:43], v[60:61]
	v_mul_f64_e32 v[193:194], s[28:29], v[175:176]
	s_mov_b32 s51, 0xbfeec746
	s_mov_b32 s50, s16
	v_mul_f64_e32 v[74:75], s[46:47], v[66:67]
	s_wait_alu 0xfffe
	v_mul_f64_e32 v[253:254], s[50:51], v[66:67]
	global_wb scope:SCOPE_SE
	s_barrier_signal -1
	s_barrier_wait -1
	global_inv scope:SCOPE_SE
	v_mul_f64_e32 v[191:192], s[36:37], v[183:184]
	v_mul_f64_e32 v[195:196], s[8:9], v[183:184]
	v_add_f64_e32 v[0:1], v[88:89], v[0:1]
	s_delay_alu instid0(VALU_DEP_1) | instskip(SKIP_1) | instid1(VALU_DEP_1)
	v_add_f64_e32 v[0:1], v[2:3], v[0:1]
	v_fma_f64 v[2:3], v[233:234], s[10:11], v[235:236]
	v_add_f64_e32 v[2:3], v[90:91], v[2:3]
	s_delay_alu instid0(VALU_DEP_1) | instskip(SKIP_1) | instid1(VALU_DEP_1)
	v_add_f64_e32 v[2:3], v[4:5], v[2:3]
	v_fma_f64 v[4:5], v[144:145], s[18:19], -v[10:11]
	v_add_f64_e32 v[0:1], v[4:5], v[0:1]
	v_fma_f64 v[4:5], v[62:63], s[22:23], v[20:21]
	s_delay_alu instid0(VALU_DEP_1) | instskip(SKIP_1) | instid1(VALU_DEP_1)
	v_add_f64_e32 v[2:3], v[4:5], v[2:3]
	v_fma_f64 v[4:5], v[149:150], s[20:21], -v[22:23]
	v_add_f64_e32 v[0:1], v[4:5], v[0:1]
	v_fma_f64 v[4:5], v[64:65], s[26:27], v[151:152]
	;; [unrolled: 5-line block ×6, first 2 shown]
	v_fma_f64 v[4:5], v[51:52], s[46:47], v[241:242]
	s_delay_alu instid0(VALU_DEP_2) | instskip(SKIP_2) | instid1(VALU_DEP_2)
	v_add_f64_e32 v[130:131], v[0:1], v[2:3]
	v_fma_f64 v[0:1], v[221:222], s[20:21], -v[8:9]
	v_fma_f64 v[2:3], v[140:141], s[36:37], -v[237:238]
	v_add_f64_e32 v[0:1], v[88:89], v[0:1]
	s_delay_alu instid0(VALU_DEP_1) | instskip(SKIP_1) | instid1(VALU_DEP_1)
	v_add_f64_e32 v[0:1], v[2:3], v[0:1]
	v_fma_f64 v[2:3], v[233:234], s[26:27], v[209:210]
	v_add_f64_e32 v[2:3], v[90:91], v[2:3]
	s_delay_alu instid0(VALU_DEP_1) | instskip(SKIP_1) | instid1(VALU_DEP_1)
	v_add_f64_e32 v[2:3], v[4:5], v[2:3]
	v_fma_f64 v[4:5], v[144:145], s[24:25], -v[239:240]
	v_add_f64_e32 v[0:1], v[4:5], v[0:1]
	v_fma_f64 v[4:5], v[62:63], s[34:35], v[245:246]
	s_delay_alu instid0(VALU_DEP_1) | instskip(SKIP_1) | instid1(VALU_DEP_1)
	v_add_f64_e32 v[2:3], v[4:5], v[2:3]
	v_fma_f64 v[4:5], v[149:150], s[2:3], -v[243:244]
	v_add_f64_e32 v[0:1], v[4:5], v[0:1]
	v_fma_f64 v[4:5], v[64:65], s[48:49], v[169:170]
	;; [unrolled: 5-line block ×6, first 2 shown]
	s_delay_alu instid0(VALU_DEP_1)
	v_add_f64_e32 v[134:135], v[0:1], v[2:3]
	s_and_saveexec_b32 s1, vcc_lo
	s_cbranch_execz .LBB0_17
; %bb.16:
	v_add_f64_e32 v[0:1], v[90:91], v[138:139]
	v_add_f64_e32 v[2:3], v[88:89], v[136:137]
	scratch_store_b64 off, v[14:15], off offset:412 ; 8-byte Folded Spill
	v_mul_f64_e32 v[14:15], s[50:51], v[233:234]
	s_mov_b32 s55, 0x3fd71e95
	s_mov_b32 s54, s22
	;; [unrolled: 1-line block ×4, first 2 shown]
	v_mul_f64_e32 v[213:214], s[40:41], v[66:67]
	v_mul_f64_e32 v[219:220], s[16:17], v[163:164]
	;; [unrolled: 1-line block ×4, first 2 shown]
	s_wait_alu 0xfffe
	v_mul_f64_e32 v[229:230], s[54:55], v[181:182]
	v_mul_f64_e32 v[207:208], s[54:55], v[66:67]
	;; [unrolled: 1-line block ×6, first 2 shown]
	scratch_store_b64 off, v[6:7], off offset:380 ; 8-byte Folded Spill
	v_mul_f64_e32 v[6:7], s[20:21], v[221:222]
	v_add_f64_e32 v[0:1], v[0:1], v[114:115]
	v_add_f64_e32 v[2:3], v[2:3], v[112:113]
	s_delay_alu instid0(VALU_DEP_3) | instskip(SKIP_1) | instid1(VALU_DEP_4)
	v_add_f64_e32 v[6:7], v[6:7], v[8:9]
	v_mul_f64_e32 v[8:9], s[10:11], v[233:234]
	v_add_f64_e32 v[0:1], v[0:1], v[118:119]
	s_delay_alu instid0(VALU_DEP_4) | instskip(NEXT) | instid1(VALU_DEP_3)
	v_add_f64_e32 v[2:3], v[2:3], v[116:117]
	v_add_f64_e64 v[8:9], v[235:236], -v[8:9]
	v_mul_f64_e32 v[235:236], s[40:41], v[181:182]
	s_delay_alu instid0(VALU_DEP_4) | instskip(NEXT) | instid1(VALU_DEP_4)
	v_add_f64_e32 v[0:1], v[0:1], v[122:123]
	v_add_f64_e32 v[2:3], v[2:3], v[120:121]
	s_delay_alu instid0(VALU_DEP_2) | instskip(NEXT) | instid1(VALU_DEP_2)
	v_add_f64_e32 v[0:1], v[0:1], v[126:127]
	v_add_f64_e32 v[2:3], v[2:3], v[124:125]
	;; [unrolled: 1-line block ×3, first 2 shown]
	s_delay_alu instid0(VALU_DEP_3) | instskip(NEXT) | instid1(VALU_DEP_3)
	v_add_f64_e32 v[0:1], v[0:1], v[110:111]
	v_add_f64_e32 v[2:3], v[2:3], v[108:109]
	v_mul_f64_e32 v[108:109], s[22:23], v[47:48]
	v_mul_f64_e32 v[110:111], s[52:53], v[47:48]
	s_delay_alu instid0(VALU_DEP_4) | instskip(NEXT) | instid1(VALU_DEP_4)
	v_add_f64_e32 v[0:1], v[0:1], v[106:107]
	v_add_f64_e32 v[2:3], v[2:3], v[104:105]
	v_mul_f64_e32 v[106:107], s[44:45], v[47:48]
	v_fma_f64 v[120:121], v[221:222], s[18:19], v[108:109]
	v_fma_f64 v[108:109], v[221:222], s[18:19], -v[108:109]
	v_mul_f64_e32 v[104:105], s[34:35], v[47:48]
	v_fma_f64 v[122:123], v[221:222], s[36:37], v[110:111]
	v_fma_f64 v[110:111], v[221:222], s[36:37], -v[110:111]
	v_add_f64_e32 v[0:1], v[0:1], v[102:103]
	v_add_f64_e32 v[2:3], v[2:3], v[100:101]
	v_fma_f64 v[118:119], v[221:222], s[28:29], v[106:107]
	v_fma_f64 v[106:107], v[221:222], s[28:29], -v[106:107]
	v_mul_f64_e32 v[100:101], s[38:39], v[47:48]
	v_mul_f64_e32 v[102:103], s[50:51], v[47:48]
	v_fma_f64 v[116:117], v[221:222], s[24:25], -v[104:105]
	v_fma_f64 v[104:105], v[221:222], s[24:25], v[104:105]
	v_mul_f64_e32 v[48:49], s[22:23], v[179:180]
	v_add_f64_e32 v[0:1], v[0:1], v[98:99]
	v_add_f64_e32 v[2:3], v[2:3], v[96:97]
	v_fma_f64 v[112:113], v[221:222], s[30:31], -v[100:101]
	v_fma_f64 v[100:101], v[221:222], s[30:31], v[100:101]
	v_fma_f64 v[114:115], v[221:222], s[8:9], -v[102:103]
	v_fma_f64 v[102:103], v[221:222], s[8:9], v[102:103]
	v_add_f64_e32 v[116:117], v[88:89], v[116:117]
	v_add_f64_e32 v[104:105], v[88:89], v[104:105]
	;; [unrolled: 1-line block ×10, first 2 shown]
	v_fma_f64 v[86:87], v[231:232], s[8:9], v[14:15]
	v_fma_f64 v[14:15], v[231:232], s[8:9], -v[14:15]
	s_delay_alu instid0(VALU_DEP_4) | instskip(NEXT) | instid1(VALU_DEP_4)
	v_add_f64_e32 v[0:1], v[0:1], v[18:19]
	v_add_f64_e32 v[2:3], v[2:3], v[16:17]
	v_mul_f64_e32 v[16:17], s[34:35], v[233:234]
	v_mul_f64_e32 v[18:19], s[44:45], v[233:234]
	s_delay_alu instid0(VALU_DEP_4) | instskip(NEXT) | instid1(VALU_DEP_4)
	v_add_f64_e32 v[0:1], v[0:1], v[39:40]
	v_add_f64_e32 v[2:3], v[2:3], v[37:38]
	s_delay_alu instid0(VALU_DEP_4) | instskip(NEXT) | instid1(VALU_DEP_4)
	v_fma_f64 v[92:93], v[231:232], s[24:25], v[16:17]
	v_fma_f64 v[94:95], v[231:232], s[28:29], -v[18:19]
	v_fma_f64 v[18:19], v[231:232], s[28:29], v[18:19]
	v_fma_f64 v[16:17], v[231:232], s[24:25], -v[16:17]
	v_add_f64_e32 v[0:1], v[0:1], v[35:36]
	v_add_f64_e32 v[2:3], v[2:3], v[33:34]
	v_mul_f64_e32 v[36:37], s[52:53], v[43:44]
	s_delay_alu instid0(VALU_DEP_3) | instskip(NEXT) | instid1(VALU_DEP_3)
	v_add_f64_e32 v[0:1], v[0:1], v[31:32]
	v_add_f64_e32 v[4:5], v[2:3], v[29:30]
	v_mul_f64_e32 v[32:33], s[52:53], v[64:65]
	s_delay_alu instid0(VALU_DEP_4) | instskip(NEXT) | instid1(VALU_DEP_4)
	v_fma_f64 v[38:39], v[149:150], s[36:37], v[36:37]
	v_add_f64_e32 v[2:3], v[0:1], v[27:28]
	s_delay_alu instid0(VALU_DEP_4)
	v_add_f64_e32 v[0:1], v[4:5], v[25:26]
	v_mul_f64_e32 v[4:5], s[26:27], v[233:234]
	v_mul_f64_e32 v[24:25], s[48:49], v[60:61]
	;; [unrolled: 1-line block ×3, first 2 shown]
	v_fma_f64 v[34:35], v[155:156], s[36:37], -v[32:33]
	scratch_store_b128 off, v[0:3], off offset:12 ; 16-byte Folded Spill
	v_add_f64_e32 v[0:1], v[90:91], v[86:87]
	v_add_f64_e64 v[4:5], v[209:210], -v[4:5]
	v_add_f64_e32 v[209:210], v[90:91], v[14:15]
	v_mul_f64_e32 v[14:15], s[26:27], v[62:63]
	v_add_f64_e32 v[86:87], v[90:91], v[94:95]
	v_add_f64_e32 v[94:95], v[88:89], v[120:121]
	v_fma_f64 v[26:27], v[173:174], s[2:3], v[24:25]
	v_fma_f64 v[30:31], v[183:184], s[28:29], -v[28:29]
	v_add_f64_e32 v[2:3], v[90:91], v[8:9]
	v_mul_f64_e32 v[8:9], s[54:55], v[51:52]
	scratch_store_b64 off, v[0:1], off offset:420 ; 8-byte Folded Spill
	v_add_f64_e32 v[0:1], v[90:91], v[92:93]
	v_add_f64_e32 v[124:125], v[90:91], v[4:5]
	v_add_f64_e32 v[92:93], v[90:91], v[16:17]
	v_fma_f64 v[4:5], v[142:143], s[18:19], v[8:9]
	v_fma_f64 v[8:9], v[142:143], s[18:19], -v[8:9]
	scratch_store_b64 off, v[0:1], off offset:372 ; 8-byte Folded Spill
	v_add_f64_e32 v[0:1], v[90:91], v[18:19]
	v_fma_f64 v[18:19], v[146:147], s[20:21], v[14:15]
	scratch_store_b64 off, v[0:1], off offset:340 ; 8-byte Folded Spill
	v_add_f64_e32 v[0:1], v[88:89], v[106:107]
	scratch_store_b64 off, v[20:21], off offset:404 ; 8-byte Folded Spill
	v_mul_f64_e32 v[20:21], s[22:23], v[233:234]
	scratch_store_b64 off, v[0:1], off offset:332 ; 8-byte Folded Spill
	v_fma_f64 v[96:97], v[231:232], s[18:19], -v[20:21]
	v_fma_f64 v[20:21], v[231:232], s[18:19], v[20:21]
	s_delay_alu instid0(VALU_DEP_2) | instskip(NEXT) | instid1(VALU_DEP_2)
	v_add_f64_e32 v[16:17], v[90:91], v[96:97]
	v_add_f64_e32 v[0:1], v[90:91], v[20:21]
	scratch_store_b64 off, v[22:23], off offset:396 ; 8-byte Folded Spill
	v_mul_f64_e32 v[22:23], s[52:53], v[233:234]
	v_add_f64_e32 v[96:97], v[88:89], v[118:119]
	v_dual_mov_b32 v20, v151 :: v_dual_mov_b32 v21, v152
	v_mul_f64_e32 v[151:152], s[46:47], v[60:61]
	scratch_store_b64 off, v[0:1], off offset:324 ; 8-byte Folded Spill
	v_add_f64_e32 v[0:1], v[88:89], v[108:109]
	scratch_store_b64 off, v[10:11], off offset:388 ; 8-byte Folded Spill
	v_mul_f64_e32 v[10:11], s[2:3], v[221:222]
	v_fma_f64 v[98:99], v[231:232], s[36:37], -v[22:23]
	v_fma_f64 v[22:23], v[231:232], s[36:37], v[22:23]
	scratch_load_b64 v[118:119], off, off offset:388 th:TH_LOAD_LU ; 8-byte Folded Reload
	scratch_store_b64 off, v[0:1], off offset:44 ; 8-byte Folded Spill
	v_add_f64_e32 v[0:1], v[88:89], v[122:123]
	v_add_f64_e32 v[10:11], v[10:11], v[12:13]
	v_mul_f64_e32 v[12:13], s[38:39], v[233:234]
	v_add_f64_e32 v[108:109], v[90:91], v[98:99]
	v_dual_mov_b32 v122, v153 :: v_dual_mov_b32 v123, v154
	v_mul_f64_e32 v[153:154], s[54:55], v[64:65]
	scratch_store_b64 off, v[0:1], off offset:364 ; 8-byte Folded Spill
	v_add_f64_e32 v[221:222], v[88:89], v[10:11]
	v_fma_f64 v[84:85], v[231:232], s[30:31], v[12:13]
	v_mul_f64_e32 v[10:11], s[54:55], v[41:42]
	v_add_f64_e32 v[0:1], v[90:91], v[22:23]
	v_fma_f64 v[12:13], v[231:232], s[30:31], -v[12:13]
	v_dual_mov_b32 v22, v70 :: v_dual_mov_b32 v23, v71
	v_dual_mov_b32 v71, v42 :: v_dual_mov_b32 v70, v41
	v_add_f64_e32 v[84:85], v[90:91], v[84:85]
	v_fma_f64 v[6:7], v[140:141], s[18:19], -v[10:11]
	scratch_store_b64 off, v[0:1], off offset:356 ; 8-byte Folded Spill
	v_add_f64_e32 v[0:1], v[88:89], v[110:111]
	v_add_f64_e32 v[12:13], v[90:91], v[12:13]
	v_fma_f64 v[10:11], v[140:141], s[18:19], v[10:11]
	v_add_f64_e32 v[4:5], v[4:5], v[84:85]
	v_add_f64_e32 v[6:7], v[6:7], v[112:113]
	s_delay_alu instid0(VALU_DEP_4)
	v_add_f64_e32 v[8:9], v[8:9], v[12:13]
	v_fma_f64 v[12:13], v[146:147], s[20:21], -v[14:15]
	v_add_f64_e32 v[10:11], v[10:11], v[100:101]
	v_fma_f64 v[14:15], v[177:178], s[24:25], v[213:214]
	v_mul_f64_e32 v[100:101], s[18:19], v[159:160]
	v_add_f64_e32 v[4:5], v[18:19], v[4:5]
	v_mul_f64_e32 v[18:19], s[26:27], v[45:46]
	v_add_f64_e32 v[8:9], v[12:13], v[8:9]
	s_delay_alu instid0(VALU_DEP_4) | instskip(SKIP_1) | instid1(VALU_DEP_4)
	v_add_f64_e32 v[100:101], v[100:101], v[247:248]
	v_mul_f64_e32 v[247:248], s[10:11], v[62:63]
	v_fma_f64 v[84:85], v[144:145], s[20:21], -v[18:19]
	v_fma_f64 v[12:13], v[144:145], s[20:21], v[18:19]
	v_mul_f64_e32 v[18:19], s[34:35], v[62:63]
	s_delay_alu instid0(VALU_DEP_3) | instskip(SKIP_1) | instid1(VALU_DEP_4)
	v_add_f64_e32 v[6:7], v[84:85], v[6:7]
	v_mul_f64_e32 v[84:85], s[42:43], v[64:65]
	v_add_f64_e32 v[10:11], v[12:13], v[10:11]
	s_delay_alu instid0(VALU_DEP_4) | instskip(SKIP_1) | instid1(VALU_DEP_4)
	v_add_f64_e64 v[18:19], v[245:246], -v[18:19]
	v_mul_f64_e32 v[245:246], s[34:35], v[41:42]
	v_fma_f64 v[88:89], v[155:156], s[28:29], v[84:85]
	v_fma_f64 v[12:13], v[155:156], s[28:29], -v[84:85]
	v_mul_f64_e32 v[84:85], s[24:25], v[144:145]
	s_delay_alu instid0(VALU_DEP_3) | instskip(SKIP_1) | instid1(VALU_DEP_4)
	v_add_f64_e32 v[4:5], v[88:89], v[4:5]
	v_mul_f64_e32 v[88:89], s[42:43], v[43:44]
	v_add_f64_e32 v[8:9], v[12:13], v[8:9]
	s_delay_alu instid0(VALU_DEP_4) | instskip(SKIP_1) | instid1(VALU_DEP_4)
	v_add_f64_e32 v[84:85], v[84:85], v[239:240]
	v_mul_f64_e32 v[239:240], s[38:39], v[181:182]
	v_fma_f64 v[90:91], v[149:150], s[28:29], -v[88:89]
	v_fma_f64 v[12:13], v[149:150], s[28:29], v[88:89]
	v_mul_f64_e32 v[88:89], s[48:49], v[64:65]
	s_delay_alu instid0(VALU_DEP_3) | instskip(SKIP_1) | instid1(VALU_DEP_4)
	v_add_f64_e32 v[6:7], v[90:91], v[6:7]
	v_mul_f64_e32 v[90:91], s[10:11], v[161:162]
	v_add_f64_e32 v[10:11], v[12:13], v[10:11]
	s_delay_alu instid0(VALU_DEP_4) | instskip(SKIP_1) | instid1(VALU_DEP_4)
	v_add_f64_e64 v[88:89], v[169:170], -v[88:89]
	v_mul_f64_e32 v[169:170], s[52:53], v[62:63]
	v_fma_f64 v[98:99], v[165:166], s[2:3], v[90:91]
	v_fma_f64 v[12:13], v[165:166], s[2:3], -v[90:91]
	v_mul_f64_e32 v[90:91], s[2:3], v[149:150]
	s_delay_alu instid0(VALU_DEP_3) | instskip(SKIP_1) | instid1(VALU_DEP_4)
	;; [unrolled: 20-line block ×3, first 2 shown]
	v_add_f64_e32 v[4:5], v[110:111], v[4:5]
	v_mul_f64_e32 v[110:111], s[46:47], v[203:204]
	v_add_f64_e32 v[8:9], v[12:13], v[8:9]
	s_delay_alu instid0(VALU_DEP_4) | instskip(SKIP_1) | instid1(VALU_DEP_4)
	v_add_f64_e64 v[106:107], v[187:188], -v[106:107]
	v_mul_f64_e32 v[187:188], s[34:35], v[64:65]
	v_fma_f64 v[112:113], v[167:168], s[36:37], -v[110:111]
	v_fma_f64 v[12:13], v[167:168], s[36:37], v[110:111]
	v_mul_f64_e32 v[110:111], s[30:31], v[167:168]
	s_delay_alu instid0(VALU_DEP_3) | instskip(SKIP_1) | instid1(VALU_DEP_4)
	v_add_f64_e32 v[6:7], v[112:113], v[6:7]
	v_mul_f64_e32 v[112:113], s[50:51], v[179:180]
	v_add_f64_e32 v[10:11], v[12:13], v[10:11]
	s_delay_alu instid0(VALU_DEP_4) | instskip(SKIP_1) | instid1(VALU_DEP_4)
	v_add_f64_e32 v[110:111], v[110:111], v[249:250]
	v_mul_f64_e32 v[249:250], s[10:11], v[45:46]
	v_fma_f64 v[231:232], v[175:176], s[8:9], v[112:113]
	v_fma_f64 v[12:13], v[175:176], s[8:9], -v[112:113]
	v_mul_f64_e32 v[112:113], s[16:17], v[45:46]
	s_delay_alu instid0(VALU_DEP_3) | instskip(SKIP_1) | instid1(VALU_DEP_4)
	v_add_f64_e32 v[4:5], v[231:232], v[4:5]
	v_mul_f64_e32 v[231:232], s[50:51], v[60:61]
	v_add_f64_e32 v[8:9], v[12:13], v[8:9]
	s_delay_alu instid0(VALU_DEP_2) | instskip(SKIP_2) | instid1(VALU_DEP_3)
	v_fma_f64 v[12:13], v[173:174], s[8:9], v[231:232]
	v_fma_f64 v[233:234], v[173:174], s[8:9], -v[231:232]
	v_mul_f64_e32 v[231:232], s[10:11], v[163:164]
	v_add_f64_e32 v[12:13], v[12:13], v[10:11]
	s_delay_alu instid0(VALU_DEP_3)
	v_add_f64_e32 v[233:234], v[233:234], v[6:7]
	v_fma_f64 v[6:7], v[183:184], s[24:25], v[235:236]
	v_fma_f64 v[10:11], v[183:184], s[24:25], -v[235:236]
	v_mul_f64_e32 v[235:236], s[26:27], v[179:180]
	v_add_f64_e32 v[136:137], v[14:15], v[12:13]
	v_mul_f64_e32 v[12:13], s[46:47], v[51:52]
	v_mul_f64_e32 v[14:15], s[36:37], v[140:141]
	v_add_f64_e32 v[6:7], v[6:7], v[4:5]
	v_fma_f64 v[4:5], v[177:178], s[24:25], -v[213:214]
	v_mul_f64_e32 v[213:214], s[50:51], v[227:228]
	v_add_f64_e32 v[138:139], v[10:11], v[8:9]
	v_dual_mov_b32 v8, v74 :: v_dual_mov_b32 v9, v75
	v_mul_f64_e32 v[74:75], s[52:53], v[227:228]
	v_dual_mov_b32 v10, v191 :: v_dual_mov_b32 v11, v192
	v_dual_mov_b32 v192, v44 :: v_dual_mov_b32 v191, v43
	v_add_f64_e64 v[12:13], v[241:242], -v[12:13]
	v_add_f64_e32 v[14:15], v[14:15], v[237:238]
	v_mul_f64_e32 v[237:238], s[26:27], v[60:61]
	v_add_f64_e32 v[4:5], v[4:5], v[233:234]
	v_mul_f64_e32 v[233:234], s[10:11], v[203:204]
	v_mul_f64_e32 v[241:242], s[38:39], v[66:67]
	scratch_store_b64 off, v[0:1], off offset:348 ; 8-byte Folded Spill
	v_mul_f64_e32 v[0:1], s[26:27], v[203:204]
	v_add_f64_e32 v[12:13], v[12:13], v[124:125]
	v_add_f64_e32 v[14:15], v[14:15], v[126:127]
	v_mul_f64_e32 v[124:125], s[44:45], v[51:52]
	scratch_store_b128 off, v[4:7], off offset:28 ; 16-byte Folded Spill
	v_mul_f64_e32 v[126:127], s[44:45], v[41:42]
	v_dual_mov_b32 v6, v66 :: v_dual_mov_b32 v7, v67
	v_dual_mov_b32 v4, v64 :: v_dual_mov_b32 v5, v65
	s_delay_alu instid0(VALU_DEP_1)
	v_mul_f64_e32 v[120:121], s[26:27], v[4:5]
	v_add_f64_e32 v[12:13], v[18:19], v[12:13]
	v_add_f64_e32 v[14:15], v[84:85], v[14:15]
	v_mul_f64_e32 v[18:19], s[42:43], v[179:180]
	v_mul_f64_e32 v[84:85], s[28:29], v[173:174]
	v_add_f64_e64 v[120:121], v[20:21], -v[120:121]
	scratch_load_b64 v[20:21], off, off offset:396 th:TH_LOAD_LU ; 8-byte Folded Reload
	v_add_f64_e32 v[12:13], v[88:89], v[12:13]
	v_add_f64_e32 v[14:15], v[90:91], v[14:15]
	v_add_f64_e64 v[18:19], v[193:194], -v[18:19]
	v_add_f64_e32 v[84:85], v[84:85], v[251:252]
	v_mul_f64_e32 v[88:89], s[50:51], v[181:182]
	v_mul_f64_e32 v[90:91], s[8:9], v[177:178]
	;; [unrolled: 1-line block ×4, first 2 shown]
	v_dual_mov_b32 v65, v52 :: v_dual_mov_b32 v64, v51
	v_add_f64_e32 v[12:13], v[98:99], v[12:13]
	v_add_f64_e32 v[14:15], v[100:101], v[14:15]
	scratch_load_b64 v[98:99], off, off offset:404 th:TH_LOAD_LU ; 8-byte Folded Reload
	v_add_f64_e64 v[88:89], v[195:196], -v[88:89]
	v_add_f64_e32 v[90:91], v[90:91], v[253:254]
	v_mul_f64_e32 v[195:196], s[50:51], v[161:162]
	v_mul_f64_e32 v[253:254], s[38:39], v[43:44]
	s_mov_b32 s51, 0x3fe0d888
	s_mov_b32 s50, s26
	s_wait_alu 0xfffe
	v_mul_f64_e32 v[215:216], s[50:51], v[161:162]
	v_mul_f64_e32 v[217:218], s[50:51], v[227:228]
	v_mul_f64_e32 v[100:101], s[50:51], v[41:42]
	v_add_f64_e32 v[12:13], v[106:107], v[12:13]
	v_add_f64_e32 v[14:15], v[110:111], v[14:15]
	v_mul_f64_e32 v[110:111], s[38:39], v[41:42]
	v_mul_f64_e32 v[106:107], s[38:39], v[51:52]
	;; [unrolled: 1-line block ×3, first 2 shown]
	v_add_f64_e32 v[12:13], v[18:19], v[12:13]
	v_add_f64_e32 v[18:19], v[84:85], v[14:15]
	v_fma_f64 v[84:85], v[146:147], s[36:37], -v[169:170]
	s_delay_alu instid0(VALU_DEP_4) | instskip(NEXT) | instid1(VALU_DEP_4)
	v_fma_f64 v[42:43], v[165:166], s[30:31], -v[40:41]
	v_add_f64_e32 v[14:15], v[88:89], v[12:13]
	s_delay_alu instid0(VALU_DEP_4) | instskip(SKIP_3) | instid1(VALU_DEP_3)
	v_add_f64_e32 v[12:13], v[90:91], v[18:19]
	v_fma_f64 v[18:19], v[142:143], s[28:29], -v[124:125]
	v_fma_f64 v[88:89], v[146:147], s[2:3], -v[247:248]
	v_fma_f64 v[90:91], v[140:141], s[30:31], v[110:111]
	v_add_f64_e32 v[16:17], v[18:19], v[16:17]
	v_fma_f64 v[18:19], v[140:141], s[28:29], v[126:127]
	s_delay_alu instid0(VALU_DEP_3) | instskip(SKIP_1) | instid1(VALU_DEP_4)
	v_add_f64_e32 v[90:91], v[90:91], v[104:105]
	v_mul_f64_e32 v[104:105], s[16:17], v[62:63]
	v_add_f64_e32 v[16:17], v[84:85], v[16:17]
	s_delay_alu instid0(VALU_DEP_4) | instskip(SKIP_2) | instid1(VALU_DEP_2)
	v_add_f64_e32 v[18:19], v[18:19], v[94:95]
	v_fma_f64 v[84:85], v[144:145], s[36:37], v[185:186]
	v_fma_f64 v[94:95], v[140:141], s[20:21], v[100:101]
	v_add_f64_e32 v[18:19], v[84:85], v[18:19]
	v_fma_f64 v[84:85], v[155:156], s[24:25], -v[187:188]
	s_delay_alu instid0(VALU_DEP_3) | instskip(SKIP_1) | instid1(VALU_DEP_3)
	v_add_f64_e32 v[94:95], v[94:95], v[102:103]
	v_mul_f64_e32 v[102:103], s[42:43], v[62:63]
	v_add_f64_e32 v[16:17], v[84:85], v[16:17]
	v_fma_f64 v[84:85], v[149:150], s[24:25], v[193:194]
	s_delay_alu instid0(VALU_DEP_1) | instskip(SKIP_1) | instid1(VALU_DEP_1)
	v_add_f64_e32 v[18:19], v[84:85], v[18:19]
	v_fma_f64 v[84:85], v[165:166], s[8:9], -v[195:196]
	v_add_f64_e32 v[16:17], v[84:85], v[16:17]
	v_fma_f64 v[84:85], v[159:160], s[8:9], v[213:214]
	s_delay_alu instid0(VALU_DEP_1) | instskip(SKIP_1) | instid1(VALU_DEP_1)
	v_add_f64_e32 v[18:19], v[84:85], v[18:19]
	v_fma_f64 v[84:85], v[171:172], s[2:3], -v[231:232]
	;; [unrolled: 5-line block ×5, first 2 shown]
	v_add_f64_e32 v[84:85], v[84:85], v[86:87]
	v_fma_f64 v[86:87], v[140:141], s[24:25], v[245:246]
	s_delay_alu instid0(VALU_DEP_2) | instskip(NEXT) | instid1(VALU_DEP_2)
	v_add_f64_e32 v[84:85], v[88:89], v[84:85]
	v_add_f64_e32 v[86:87], v[86:87], v[96:97]
	v_fma_f64 v[88:89], v[144:145], s[2:3], v[249:250]
	v_fma_f64 v[96:97], v[146:147], s[28:29], -v[102:103]
	s_delay_alu instid0(VALU_DEP_2) | instskip(SKIP_1) | instid1(VALU_DEP_1)
	v_add_f64_e32 v[86:87], v[88:89], v[86:87]
	v_fma_f64 v[88:89], v[155:156], s[30:31], -v[251:252]
	v_add_f64_e32 v[84:85], v[88:89], v[84:85]
	v_fma_f64 v[88:89], v[149:150], s[30:31], v[253:254]
	s_delay_alu instid0(VALU_DEP_1) | instskip(SKIP_1) | instid1(VALU_DEP_1)
	v_add_f64_e32 v[86:87], v[88:89], v[86:87]
	v_fma_f64 v[88:89], v[165:166], s[20:21], -v[215:216]
	v_add_f64_e32 v[84:85], v[88:89], v[84:85]
	v_fma_f64 v[88:89], v[159:160], s[20:21], v[217:218]
	s_delay_alu instid0(VALU_DEP_1) | instskip(SKIP_1) | instid1(VALU_DEP_1)
	;; [unrolled: 5-line block ×5, first 2 shown]
	v_add_f64_e32 v[84:85], v[84:85], v[88:89]
	v_fma_f64 v[88:89], v[142:143], s[30:31], -v[106:107]
	v_add_f64_e32 v[88:89], v[88:89], v[92:93]
	v_fma_f64 v[92:93], v[146:147], s[8:9], -v[104:105]
	s_delay_alu instid0(VALU_DEP_1) | instskip(SKIP_1) | instid1(VALU_DEP_1)
	v_add_f64_e32 v[88:89], v[92:93], v[88:89]
	v_fma_f64 v[92:93], v[144:145], s[8:9], v[112:113]
	v_add_f64_e32 v[90:91], v[92:93], v[90:91]
	v_fma_f64 v[92:93], v[155:156], s[18:19], -v[153:154]
	s_delay_alu instid0(VALU_DEP_1) | instskip(SKIP_1) | instid1(VALU_DEP_1)
	v_add_f64_e32 v[88:89], v[92:93], v[88:89]
	v_fma_f64 v[92:93], v[149:150], s[18:19], v[199:200]
	;; [unrolled: 5-line block ×3, first 2 shown]
	v_add_f64_e32 v[90:91], v[92:93], v[90:91]
	v_fma_f64 v[92:93], v[171:172], s[20:21], -v[197:198]
	s_delay_alu instid0(VALU_DEP_1) | instskip(SKIP_2) | instid1(VALU_DEP_2)
	v_add_f64_e32 v[88:89], v[92:93], v[88:89]
	v_fma_f64 v[92:93], v[167:168], s[20:21], v[0:1]
	v_fma_f64 v[0:1], v[167:168], s[20:21], -v[0:1]
	v_add_f64_e32 v[90:91], v[92:93], v[90:91]
	v_fma_f64 v[92:93], v[175:176], s[2:3], -v[201:202]
	s_delay_alu instid0(VALU_DEP_2) | instskip(NEXT) | instid1(VALU_DEP_2)
	v_add_f64_e32 v[26:27], v[26:27], v[90:91]
	v_add_f64_e32 v[88:89], v[92:93], v[88:89]
	s_delay_alu instid0(VALU_DEP_1) | instskip(SKIP_2) | instid1(VALU_DEP_2)
	v_add_f64_e32 v[90:91], v[30:31], v[88:89]
	v_mul_f64_e32 v[30:31], s[42:43], v[66:67]
	v_dual_mov_b32 v67, v46 :: v_dual_mov_b32 v66, v45
	v_fma_f64 v[88:89], v[177:178], s[28:29], v[30:31]
	s_delay_alu instid0(VALU_DEP_1) | instskip(SKIP_3) | instid1(VALU_DEP_3)
	v_add_f64_e32 v[88:89], v[88:89], v[26:27]
	v_mul_f64_e32 v[26:27], s[50:51], v[51:52]
	v_fma_f64 v[50:51], v[175:176], s[18:19], -v[48:49]
	v_mul_f64_e32 v[52:53], s[10:11], v[181:182]
	v_fma_f64 v[92:93], v[142:143], s[20:21], -v[26:27]
	s_delay_alu instid0(VALU_DEP_2) | instskip(NEXT) | instid1(VALU_DEP_2)
	v_fma_f64 v[54:55], v[183:184], s[2:3], -v[52:53]
	v_add_f64_e32 v[92:93], v[92:93], v[209:210]
	v_mul_f64_e32 v[209:210], s[42:43], v[45:46]
	v_mul_f64_e32 v[44:45], s[40:41], v[163:164]
	s_delay_alu instid0(VALU_DEP_3) | instskip(NEXT) | instid1(VALU_DEP_3)
	v_add_f64_e32 v[92:93], v[96:97], v[92:93]
	v_fma_f64 v[96:97], v[144:145], s[28:29], v[209:210]
	s_delay_alu instid0(VALU_DEP_3) | instskip(NEXT) | instid1(VALU_DEP_3)
	v_fma_f64 v[46:47], v[171:172], s[24:25], -v[44:45]
	v_add_f64_e32 v[34:35], v[34:35], v[92:93]
	s_delay_alu instid0(VALU_DEP_3) | instskip(SKIP_4) | instid1(VALU_DEP_3)
	v_add_f64_e32 v[94:95], v[96:97], v[94:95]
	scratch_load_b64 v[96:97], off, off offset:380 th:TH_LOAD_LU ; 8-byte Folded Reload
	v_add_f64_e32 v[34:35], v[42:43], v[34:35]
	v_mul_f64_e32 v[42:43], s[38:39], v[227:228]
	v_add_f64_e32 v[38:39], v[38:39], v[94:95]
	v_add_f64_e32 v[34:35], v[46:47], v[34:35]
	s_delay_alu instid0(VALU_DEP_3) | instskip(SKIP_1) | instid1(VALU_DEP_3)
	v_fma_f64 v[92:93], v[159:160], s[30:31], v[42:43]
	v_mul_f64_e32 v[46:47], s[40:41], v[203:204]
	v_add_f64_e32 v[34:35], v[50:51], v[34:35]
	s_delay_alu instid0(VALU_DEP_3) | instskip(NEXT) | instid1(VALU_DEP_3)
	v_add_f64_e32 v[38:39], v[92:93], v[38:39]
	v_fma_f64 v[92:93], v[167:168], s[24:25], v[46:47]
	v_mul_f64_e32 v[50:51], s[22:23], v[60:61]
	s_delay_alu instid0(VALU_DEP_4) | instskip(SKIP_1) | instid1(VALU_DEP_4)
	v_add_f64_e32 v[94:95], v[54:55], v[34:35]
	v_mul_f64_e32 v[34:35], s[10:11], v[6:7]
	v_add_f64_e32 v[38:39], v[92:93], v[38:39]
	s_delay_alu instid0(VALU_DEP_4) | instskip(NEXT) | instid1(VALU_DEP_3)
	v_fma_f64 v[92:93], v[173:174], s[18:19], v[50:51]
	v_fma_f64 v[54:55], v[177:178], s[2:3], v[34:35]
	s_delay_alu instid0(VALU_DEP_2) | instskip(NEXT) | instid1(VALU_DEP_1)
	v_add_f64_e32 v[38:39], v[92:93], v[38:39]
	v_add_f64_e32 v[92:93], v[54:55], v[38:39]
	scratch_load_b64 v[54:55], off, off offset:412 th:TH_LOAD_LU ; 8-byte Folded Reload
	v_mul_f64_e32 v[38:39], s[16:17], v[64:65]
	s_wait_loadcnt 0x0
	s_delay_alu instid0(VALU_DEP_1) | instskip(SKIP_1) | instid1(VALU_DEP_2)
	v_add_f64_e64 v[38:39], v[54:55], -v[38:39]
	v_mul_f64_e32 v[54:55], s[8:9], v[140:141]
	v_add_f64_e32 v[2:3], v[38:39], v[2:3]
	s_delay_alu instid0(VALU_DEP_2) | instskip(SKIP_1) | instid1(VALU_DEP_2)
	v_add_f64_e32 v[54:55], v[54:55], v[96:97]
	v_mul_f64_e32 v[96:97], s[22:23], v[62:63]
	v_add_f64_e32 v[38:39], v[54:55], v[221:222]
	s_delay_alu instid0(VALU_DEP_2) | instskip(SKIP_2) | instid1(VALU_DEP_3)
	v_add_f64_e64 v[96:97], v[98:99], -v[96:97]
	v_mul_f64_e32 v[98:99], s[18:19], v[144:145]
	v_mul_f64_e32 v[54:55], s[28:29], v[167:168]
	v_add_f64_e32 v[2:3], v[96:97], v[2:3]
	s_delay_alu instid0(VALU_DEP_3)
	v_add_f64_e32 v[98:99], v[98:99], v[118:119]
	v_mul_f64_e32 v[118:119], s[20:21], v[149:150]
	v_mul_f64_e32 v[96:97], s[38:39], v[179:180]
	v_add_f64_e32 v[54:55], v[54:55], v[157:158]
	s_mov_b32 s39, 0x3fc7851a
	v_add_f64_e32 v[2:3], v[120:121], v[2:3]
	v_add_f64_e32 v[38:39], v[98:99], v[38:39]
	;; [unrolled: 1-line block ×3, first 2 shown]
	v_mul_f64_e32 v[20:21], s[40:41], v[161:162]
	v_add_f64_e64 v[96:97], v[72:73], -v[96:97]
	v_mul_f64_e32 v[98:99], s[30:31], v[173:174]
	s_delay_alu instid0(VALU_DEP_4) | instskip(NEXT) | instid1(VALU_DEP_4)
	v_add_f64_e32 v[38:39], v[118:119], v[38:39]
	v_add_f64_e64 v[20:21], v[22:23], -v[20:21]
	v_mul_f64_e32 v[22:23], s[24:25], v[159:160]
	s_delay_alu instid0(VALU_DEP_4) | instskip(NEXT) | instid1(VALU_DEP_3)
	v_add_f64_e32 v[98:99], v[98:99], v[68:69]
	v_add_f64_e32 v[2:3], v[20:21], v[2:3]
	s_delay_alu instid0(VALU_DEP_3) | instskip(SKIP_1) | instid1(VALU_DEP_2)
	v_add_f64_e32 v[22:23], v[22:23], v[122:123]
	v_mul_f64_e32 v[122:123], s[44:45], v[163:164]
	v_add_f64_e32 v[20:21], v[22:23], v[38:39]
	v_mul_f64_e32 v[38:39], s[36:37], v[177:178]
	s_delay_alu instid0(VALU_DEP_3) | instskip(SKIP_1) | instid1(VALU_DEP_4)
	v_add_f64_e64 v[122:123], v[189:190], -v[122:123]
	v_mul_f64_e32 v[22:23], s[46:47], v[181:182]
	v_add_f64_e32 v[20:21], v[54:55], v[20:21]
	s_delay_alu instid0(VALU_DEP_4) | instskip(SKIP_4) | instid1(VALU_DEP_3)
	v_add_f64_e32 v[38:39], v[38:39], v[8:9]
	scratch_load_b64 v[8:9], off, off offset:420 th:TH_LOAD_LU ; 8-byte Folded Reload
	v_add_f64_e32 v[2:3], v[122:123], v[2:3]
	v_add_f64_e64 v[22:23], v[10:11], -v[22:23]
	v_add_f64_e32 v[20:21], v[98:99], v[20:21]
	v_add_f64_e32 v[2:3], v[96:97], v[2:3]
	s_delay_alu instid0(VALU_DEP_2) | instskip(SKIP_1) | instid1(VALU_DEP_3)
	v_add_f64_e32 v[96:97], v[38:39], v[20:21]
	v_fma_f64 v[20:21], v[140:141], s[20:21], -v[100:101]
	v_add_f64_e32 v[98:99], v[22:23], v[2:3]
	v_fma_f64 v[2:3], v[142:143], s[20:21], v[26:27]
	v_fma_f64 v[22:23], v[146:147], s[28:29], v[102:103]
	v_fma_f64 v[26:27], v[177:178], s[2:3], -v[34:35]
	v_add_f64_e32 v[20:21], v[20:21], v[114:115]
	s_wait_loadcnt 0x0
	s_delay_alu instid0(VALU_DEP_4) | instskip(SKIP_3) | instid1(VALU_DEP_1)
	v_add_f64_e32 v[2:3], v[2:3], v[8:9]
	scratch_load_b64 v[8:9], off, off offset:372 th:TH_LOAD_LU ; 8-byte Folded Reload
	v_add_f64_e32 v[2:3], v[22:23], v[2:3]
	v_fma_f64 v[22:23], v[144:145], s[28:29], -v[209:210]
	v_add_f64_e32 v[20:21], v[22:23], v[20:21]
	v_fma_f64 v[22:23], v[155:156], s[36:37], v[32:33]
	s_delay_alu instid0(VALU_DEP_1) | instskip(SKIP_1) | instid1(VALU_DEP_1)
	v_add_f64_e32 v[2:3], v[22:23], v[2:3]
	v_fma_f64 v[22:23], v[149:150], s[36:37], -v[36:37]
	v_add_f64_e32 v[20:21], v[22:23], v[20:21]
	v_fma_f64 v[22:23], v[165:166], s[30:31], v[40:41]
	s_delay_alu instid0(VALU_DEP_1) | instskip(SKIP_1) | instid1(VALU_DEP_1)
	v_add_f64_e32 v[2:3], v[22:23], v[2:3]
	v_fma_f64 v[22:23], v[159:160], s[30:31], -v[42:43]
	v_add_f64_e32 v[20:21], v[22:23], v[20:21]
	v_fma_f64 v[22:23], v[171:172], s[24:25], v[44:45]
	s_delay_alu instid0(VALU_DEP_1) | instskip(SKIP_2) | instid1(VALU_DEP_2)
	v_add_f64_e32 v[2:3], v[22:23], v[2:3]
	v_fma_f64 v[22:23], v[167:168], s[24:25], -v[46:47]
	v_mul_f64_e32 v[46:47], s[26:27], v[6:7]
	v_add_f64_e32 v[20:21], v[22:23], v[20:21]
	v_fma_f64 v[22:23], v[175:176], s[18:19], v[48:49]
	s_delay_alu instid0(VALU_DEP_1) | instskip(SKIP_1) | instid1(VALU_DEP_1)
	v_add_f64_e32 v[2:3], v[22:23], v[2:3]
	v_fma_f64 v[22:23], v[173:174], s[18:19], -v[50:51]
	v_add_f64_e32 v[20:21], v[22:23], v[20:21]
	v_fma_f64 v[22:23], v[183:184], s[2:3], v[52:53]
	s_delay_alu instid0(VALU_DEP_2) | instskip(NEXT) | instid1(VALU_DEP_2)
	v_add_f64_e32 v[100:101], v[26:27], v[20:21]
	v_add_f64_e32 v[102:103], v[22:23], v[2:3]
	v_fma_f64 v[2:3], v[142:143], s[30:31], v[106:107]
	v_fma_f64 v[20:21], v[140:141], s[30:31], -v[110:111]
	v_fma_f64 v[22:23], v[146:147], s[8:9], v[104:105]
	s_wait_loadcnt 0x0
	s_delay_alu instid0(VALU_DEP_3) | instskip(NEXT) | instid1(VALU_DEP_3)
	v_add_f64_e32 v[2:3], v[2:3], v[8:9]
	v_add_f64_e32 v[20:21], v[20:21], v[116:117]
	scratch_load_b64 v[8:9], off, off offset:364 th:TH_LOAD_LU ; 8-byte Folded Reload
	v_add_f64_e32 v[2:3], v[22:23], v[2:3]
	v_fma_f64 v[22:23], v[144:145], s[8:9], -v[112:113]
	s_delay_alu instid0(VALU_DEP_1) | instskip(SKIP_1) | instid1(VALU_DEP_1)
	v_add_f64_e32 v[20:21], v[22:23], v[20:21]
	v_fma_f64 v[22:23], v[155:156], s[18:19], v[153:154]
	v_add_f64_e32 v[2:3], v[22:23], v[2:3]
	v_fma_f64 v[22:23], v[149:150], s[18:19], -v[199:200]
	s_delay_alu instid0(VALU_DEP_1) | instskip(SKIP_1) | instid1(VALU_DEP_1)
	v_add_f64_e32 v[20:21], v[22:23], v[20:21]
	v_fma_f64 v[22:23], v[165:166], s[36:37], v[205:206]
	v_add_f64_e32 v[2:3], v[22:23], v[2:3]
	v_fma_f64 v[22:23], v[159:160], s[36:37], -v[74:75]
	s_delay_alu instid0(VALU_DEP_1) | instskip(SKIP_1) | instid1(VALU_DEP_2)
	v_add_f64_e32 v[20:21], v[22:23], v[20:21]
	v_fma_f64 v[22:23], v[171:172], s[20:21], v[197:198]
	v_add_f64_e32 v[0:1], v[0:1], v[20:21]
	s_delay_alu instid0(VALU_DEP_2) | instskip(SKIP_2) | instid1(VALU_DEP_2)
	v_add_f64_e32 v[2:3], v[22:23], v[2:3]
	v_fma_f64 v[20:21], v[175:176], s[2:3], v[201:202]
	v_fma_f64 v[22:23], v[177:178], s[28:29], -v[30:31]
	v_add_f64_e32 v[2:3], v[20:21], v[2:3]
	v_fma_f64 v[20:21], v[173:174], s[2:3], -v[24:25]
	s_wait_alu 0xfffe
	v_mul_f64_e32 v[24:25], s[38:39], v[62:63]
	s_delay_alu instid0(VALU_DEP_2) | instskip(SKIP_1) | instid1(VALU_DEP_3)
	v_add_f64_e32 v[0:1], v[20:21], v[0:1]
	v_fma_f64 v[20:21], v[183:184], s[28:29], v[28:29]
	v_fma_f64 v[26:27], v[146:147], s[30:31], -v[24:25]
	s_delay_alu instid0(VALU_DEP_3) | instskip(SKIP_1) | instid1(VALU_DEP_4)
	v_add_f64_e32 v[104:105], v[22:23], v[0:1]
	v_mul_f64_e32 v[0:1], s[10:11], v[64:65]
	v_add_f64_e32 v[106:107], v[20:21], v[2:3]
	v_mul_f64_e32 v[20:21], s[10:11], v[70:71]
	s_delay_alu instid0(VALU_DEP_3) | instskip(SKIP_1) | instid1(VALU_DEP_3)
	v_fma_f64 v[2:3], v[142:143], s[2:3], -v[0:1]
	v_fma_f64 v[0:1], v[142:143], s[2:3], v[0:1]
	v_fma_f64 v[22:23], v[140:141], s[2:3], v[20:21]
	s_delay_alu instid0(VALU_DEP_3) | instskip(SKIP_1) | instid1(VALU_DEP_2)
	v_add_f64_e32 v[2:3], v[2:3], v[108:109]
	s_wait_loadcnt 0x0
	v_add_f64_e32 v[22:23], v[22:23], v[8:9]
	s_delay_alu instid0(VALU_DEP_2) | instskip(SKIP_1) | instid1(VALU_DEP_1)
	v_add_f64_e32 v[2:3], v[26:27], v[2:3]
	v_mul_f64_e32 v[26:27], s[38:39], v[66:67]
	v_fma_f64 v[28:29], v[144:145], s[30:31], v[26:27]
	s_delay_alu instid0(VALU_DEP_1) | instskip(SKIP_3) | instid1(VALU_DEP_1)
	v_add_f64_e32 v[22:23], v[28:29], v[22:23]
	v_mul_f64_e32 v[28:29], s[16:17], v[4:5]
	scratch_load_b64 v[4:5], off, off offset:348 th:TH_LOAD_LU ; 8-byte Folded Reload
	v_fma_f64 v[30:31], v[155:156], s[8:9], -v[28:29]
	v_add_f64_e32 v[2:3], v[30:31], v[2:3]
	v_mul_f64_e32 v[30:31], s[16:17], v[191:192]
	s_delay_alu instid0(VALU_DEP_1) | instskip(NEXT) | instid1(VALU_DEP_1)
	v_fma_f64 v[32:33], v[149:150], s[8:9], v[30:31]
	v_add_f64_e32 v[22:23], v[32:33], v[22:23]
	v_mul_f64_e32 v[32:33], s[42:43], v[161:162]
	s_delay_alu instid0(VALU_DEP_1) | instskip(NEXT) | instid1(VALU_DEP_1)
	v_fma_f64 v[34:35], v[165:166], s[28:29], -v[32:33]
	v_add_f64_e32 v[2:3], v[34:35], v[2:3]
	v_mul_f64_e32 v[34:35], s[42:43], v[227:228]
	s_delay_alu instid0(VALU_DEP_1) | instskip(NEXT) | instid1(VALU_DEP_1)
	v_fma_f64 v[36:37], v[159:160], s[28:29], v[34:35]
	v_add_f64_e32 v[22:23], v[36:37], v[22:23]
	v_mul_f64_e32 v[36:37], s[22:23], v[163:164]
	s_delay_alu instid0(VALU_DEP_1) | instskip(NEXT) | instid1(VALU_DEP_1)
	;; [unrolled: 8-line block ×4, first 2 shown]
	v_fma_f64 v[48:49], v[183:184], s[20:21], -v[44:45]
	v_add_f64_e32 v[110:111], v[48:49], v[2:3]
	v_fma_f64 v[2:3], v[177:178], s[20:21], v[46:47]
	s_delay_alu instid0(VALU_DEP_1)
	v_add_f64_e32 v[108:109], v[2:3], v[22:23]
	scratch_load_b64 v[2:3], off, off offset:356 th:TH_LOAD_LU ; 8-byte Folded Reload
	v_fma_f64 v[22:23], v[177:178], s[20:21], -v[46:47]
	s_wait_loadcnt 0x0
	v_add_f64_e32 v[0:1], v[0:1], v[2:3]
	v_fma_f64 v[2:3], v[140:141], s[2:3], -v[20:21]
	v_fma_f64 v[20:21], v[146:147], s[30:31], v[24:25]
	v_fma_f64 v[24:25], v[155:156], s[24:25], v[187:188]
	s_delay_alu instid0(VALU_DEP_3) | instskip(NEXT) | instid1(VALU_DEP_3)
	v_add_f64_e32 v[2:3], v[2:3], v[4:5]
	v_add_f64_e32 v[0:1], v[20:21], v[0:1]
	v_fma_f64 v[20:21], v[144:145], s[30:31], -v[26:27]
	scratch_load_b64 v[4:5], off, off offset:332 th:TH_LOAD_LU ; 8-byte Folded Reload
	v_add_f64_e32 v[2:3], v[20:21], v[2:3]
	v_fma_f64 v[20:21], v[155:156], s[8:9], v[28:29]
	s_delay_alu instid0(VALU_DEP_1) | instskip(SKIP_1) | instid1(VALU_DEP_1)
	v_add_f64_e32 v[0:1], v[20:21], v[0:1]
	v_fma_f64 v[20:21], v[149:150], s[8:9], -v[30:31]
	v_add_f64_e32 v[2:3], v[20:21], v[2:3]
	v_fma_f64 v[20:21], v[165:166], s[28:29], v[32:33]
	s_delay_alu instid0(VALU_DEP_1) | instskip(SKIP_1) | instid1(VALU_DEP_1)
	v_add_f64_e32 v[0:1], v[20:21], v[0:1]
	v_fma_f64 v[20:21], v[159:160], s[28:29], -v[34:35]
	;; [unrolled: 5-line block ×4, first 2 shown]
	v_add_f64_e32 v[2:3], v[20:21], v[2:3]
	v_fma_f64 v[20:21], v[183:184], s[20:21], v[44:45]
	s_delay_alu instid0(VALU_DEP_2)
	v_add_f64_e32 v[112:113], v[22:23], v[2:3]
	scratch_load_b64 v[2:3], off, off offset:340 th:TH_LOAD_LU ; 8-byte Folded Reload
	v_add_f64_e32 v[114:115], v[20:21], v[0:1]
	v_fma_f64 v[0:1], v[142:143], s[24:25], v[243:244]
	v_fma_f64 v[20:21], v[146:147], s[2:3], v[247:248]
	v_fma_f64 v[22:23], v[177:178], s[18:19], -v[207:208]
	s_wait_loadcnt 0x0
	s_delay_alu instid0(VALU_DEP_3) | instskip(SKIP_1) | instid1(VALU_DEP_2)
	v_add_f64_e32 v[0:1], v[0:1], v[2:3]
	v_fma_f64 v[2:3], v[140:141], s[24:25], -v[245:246]
	v_add_f64_e32 v[0:1], v[20:21], v[0:1]
	s_delay_alu instid0(VALU_DEP_2) | instskip(SKIP_4) | instid1(VALU_DEP_1)
	v_add_f64_e32 v[2:3], v[2:3], v[4:5]
	v_fma_f64 v[20:21], v[144:145], s[2:3], -v[249:250]
	scratch_load_b64 v[4:5], off, off offset:324 th:TH_LOAD_LU ; 8-byte Folded Reload
	v_add_f64_e32 v[2:3], v[20:21], v[2:3]
	v_fma_f64 v[20:21], v[155:156], s[30:31], v[251:252]
	v_add_f64_e32 v[0:1], v[20:21], v[0:1]
	v_fma_f64 v[20:21], v[149:150], s[30:31], -v[253:254]
	s_delay_alu instid0(VALU_DEP_1) | instskip(SKIP_1) | instid1(VALU_DEP_1)
	v_add_f64_e32 v[2:3], v[20:21], v[2:3]
	v_fma_f64 v[20:21], v[165:166], s[20:21], v[215:216]
	v_add_f64_e32 v[0:1], v[20:21], v[0:1]
	v_fma_f64 v[20:21], v[159:160], s[20:21], -v[217:218]
	s_delay_alu instid0(VALU_DEP_1) | instskip(SKIP_1) | instid1(VALU_DEP_1)
	v_add_f64_e32 v[2:3], v[20:21], v[2:3]
	v_fma_f64 v[20:21], v[171:172], s[8:9], v[219:220]
	v_add_f64_e32 v[0:1], v[20:21], v[0:1]
	v_fma_f64 v[20:21], v[167:168], s[8:9], -v[223:224]
	s_delay_alu instid0(VALU_DEP_1) | instskip(SKIP_1) | instid1(VALU_DEP_1)
	v_add_f64_e32 v[2:3], v[20:21], v[2:3]
	v_fma_f64 v[20:21], v[175:176], s[36:37], v[225:226]
	v_add_f64_e32 v[0:1], v[20:21], v[0:1]
	v_fma_f64 v[20:21], v[173:174], s[36:37], -v[151:152]
	s_delay_alu instid0(VALU_DEP_1) | instskip(SKIP_1) | instid1(VALU_DEP_2)
	v_add_f64_e32 v[2:3], v[20:21], v[2:3]
	v_fma_f64 v[20:21], v[183:184], s[18:19], v[229:230]
	v_add_f64_e32 v[116:117], v[22:23], v[2:3]
	s_delay_alu instid0(VALU_DEP_2)
	v_add_f64_e32 v[118:119], v[20:21], v[0:1]
	v_fma_f64 v[0:1], v[142:143], s[28:29], v[124:125]
	v_fma_f64 v[2:3], v[140:141], s[28:29], -v[126:127]
	v_fma_f64 v[20:21], v[146:147], s[36:37], v[169:170]
	v_fma_f64 v[22:23], v[144:145], s[36:37], -v[185:186]
	s_wait_loadcnt 0x0
	s_delay_alu instid0(VALU_DEP_4) | instskip(SKIP_3) | instid1(VALU_DEP_2)
	v_add_f64_e32 v[0:1], v[0:1], v[4:5]
	scratch_load_b64 v[4:5], off, off offset:44 th:TH_LOAD_LU ; 8-byte Folded Reload
	v_add_f64_e32 v[0:1], v[20:21], v[0:1]
	v_fma_f64 v[20:21], v[149:150], s[24:25], -v[193:194]
	v_add_f64_e32 v[0:1], v[24:25], v[0:1]
	v_fma_f64 v[24:25], v[159:160], s[8:9], -v[213:214]
	s_wait_loadcnt 0x0
	v_add_f64_e32 v[2:3], v[2:3], v[4:5]
	s_delay_alu instid0(VALU_DEP_1) | instskip(SKIP_1) | instid1(VALU_DEP_2)
	v_add_f64_e32 v[2:3], v[22:23], v[2:3]
	v_fma_f64 v[22:23], v[165:166], s[8:9], v[195:196]
	v_add_f64_e32 v[2:3], v[20:21], v[2:3]
	v_fma_f64 v[20:21], v[171:172], s[2:3], v[231:232]
	s_delay_alu instid0(VALU_DEP_3) | instskip(SKIP_1) | instid1(VALU_DEP_4)
	v_add_f64_e32 v[0:1], v[22:23], v[0:1]
	v_fma_f64 v[22:23], v[167:168], s[2:3], -v[233:234]
	v_add_f64_e32 v[2:3], v[24:25], v[2:3]
	v_fma_f64 v[24:25], v[175:176], s[20:21], v[235:236]
	s_delay_alu instid0(VALU_DEP_4) | instskip(SKIP_1) | instid1(VALU_DEP_4)
	v_add_f64_e32 v[0:1], v[20:21], v[0:1]
	v_fma_f64 v[20:21], v[173:174], s[20:21], -v[237:238]
	v_add_f64_e32 v[2:3], v[22:23], v[2:3]
	v_fma_f64 v[22:23], v[183:184], s[30:31], v[239:240]
	s_delay_alu instid0(VALU_DEP_4) | instskip(SKIP_1) | instid1(VALU_DEP_4)
	v_add_f64_e32 v[0:1], v[24:25], v[0:1]
	v_fma_f64 v[24:25], v[177:178], s[30:31], -v[241:242]
	v_add_f64_e32 v[2:3], v[20:21], v[2:3]
	s_delay_alu instid0(VALU_DEP_3)
	v_add_f64_e32 v[122:123], v[22:23], v[0:1]
	s_clause 0x1
	scratch_load_b32 v0, off, off offset:304 th:TH_LOAD_LU
	scratch_load_b32 v1, off, off
	v_add_f64_e32 v[120:121], v[24:25], v[2:3]
	s_wait_loadcnt 0x1
	v_and_b32_e32 v0, 0xffff, v0
	s_wait_loadcnt 0x0
	s_delay_alu instid0(VALU_DEP_1)
	v_lshl_add_u32 v0, v0, 4, v1
	scratch_load_b128 v[1:4], off, off offset:12 th:TH_LOAD_LU ; 16-byte Folded Reload
	s_wait_loadcnt 0x0
	ds_store_b128 v0, v[1:4]
	ds_store_b128 v0, v[16:19] offset:16
	ds_store_b128 v0, v[84:87] offset:32
	;; [unrolled: 1-line block ×8, first 2 shown]
	scratch_load_b128 v[1:4], off, off offset:28 th:TH_LOAD_LU ; 16-byte Folded Reload
	s_wait_loadcnt 0x0
	ds_store_b128 v0, v[1:4] offset:144
	ds_store_b128 v0, v[132:135] offset:160
	;; [unrolled: 1-line block ×8, first 2 shown]
.LBB0_17:
	s_wait_alu 0xfffe
	s_or_b32 exec_lo, exec_lo, s1
	global_wb scope:SCOPE_SE
	s_wait_storecnt_dscnt 0x0
	s_barrier_signal -1
	s_barrier_wait -1
	global_inv scope:SCOPE_SE
	ds_load_b128 v[4:7], v211
	ds_load_b128 v[8:11], v211 offset:544
	ds_load_b128 v[84:87], v211 offset:3536
	;; [unrolled: 1-line block ×9, first 2 shown]
	s_and_saveexec_b32 s1, s0
	s_cbranch_execz .LBB0_19
; %bb.18:
	ds_load_b128 v[132:135], v211 offset:2720
	ds_load_b128 v[128:131], v211 offset:5712
.LBB0_19:
	s_wait_alu 0xfffe
	s_or_b32 exec_lo, exec_lo, s1
	s_clause 0x3
	scratch_load_b128 v[40:43], off, off offset:84 th:TH_LOAD_LU
	scratch_load_b128 v[50:53], off, off offset:68 th:TH_LOAD_LU
	;; [unrolled: 1-line block ×4, first 2 shown]
	s_wait_loadcnt_dscnt 0x303
	v_mul_f64_e32 v[20:21], v[42:43], v[102:103]
	v_mul_f64_e32 v[22:23], v[42:43], v[100:101]
	scratch_load_b128 v[42:45], off, off offset:100 th:TH_LOAD_LU ; 16-byte Folded Reload
	global_wb scope:SCOPE_SE
	s_wait_loadcnt_dscnt 0x0
	s_barrier_signal -1
	s_barrier_wait -1
	global_inv scope:SCOPE_SE
	v_mul_f64_e32 v[32:33], v[52:53], v[98:99]
	v_mul_f64_e32 v[34:35], v[52:53], v[96:97]
	;; [unrolled: 1-line block ×6, first 2 shown]
	v_fma_f64 v[20:21], v[40:41], v[100:101], v[20:21]
	v_fma_f64 v[22:23], v[40:41], v[102:103], -v[22:23]
	v_fma_f64 v[48:49], v[50:51], v[96:97], v[32:33]
	v_fma_f64 v[50:51], v[50:51], v[98:99], -v[34:35]
	;; [unrolled: 2-line block ×3, first 2 shown]
	s_delay_alu instid0(VALU_DEP_4) | instskip(NEXT) | instid1(VALU_DEP_4)
	v_add_f64_e64 v[36:37], v[12:13], -v[48:49]
	v_add_f64_e64 v[38:39], v[14:15], -v[50:51]
	s_delay_alu instid0(VALU_DEP_2) | instskip(NEXT) | instid1(VALU_DEP_2)
	v_fma_f64 v[12:13], v[12:13], 2.0, -v[36:37]
	v_fma_f64 v[14:15], v[14:15], 2.0, -v[38:39]
	v_mul_f64_e32 v[24:25], v[44:45], v[86:87]
	v_mul_f64_e32 v[26:27], v[44:45], v[84:85]
	v_fma_f64 v[44:45], v[46:47], v[88:89], v[28:29]
	v_fma_f64 v[46:47], v[46:47], v[90:91], -v[30:31]
	s_delay_alu instid0(VALU_DEP_4)
	v_fma_f64 v[40:41], v[42:43], v[84:85], v[24:25]
	v_add_f64_e64 v[24:25], v[4:5], -v[20:21]
	scratch_load_b32 v20, off, off offset:228 th:TH_LOAD_LU ; 4-byte Folded Reload
	v_fma_f64 v[42:43], v[42:43], v[86:87], -v[26:27]
	v_add_f64_e64 v[26:27], v[6:7], -v[22:23]
	v_add_f64_e64 v[32:33], v[16:17], -v[44:45]
	;; [unrolled: 1-line block ×4, first 2 shown]
	v_fma_f64 v[4:5], v[4:5], 2.0, -v[24:25]
	v_add_f64_e64 v[40:41], v[0:1], -v[52:53]
	v_add_f64_e64 v[30:31], v[10:11], -v[42:43]
	v_fma_f64 v[6:7], v[6:7], 2.0, -v[26:27]
	v_add_f64_e64 v[42:43], v[2:3], -v[54:55]
	v_fma_f64 v[16:17], v[16:17], 2.0, -v[32:33]
	v_fma_f64 v[18:19], v[18:19], 2.0, -v[34:35]
	s_wait_loadcnt 0x0
	ds_store_b128 v20, v[4:7]
	ds_store_b128 v20, v[24:27] offset:272
	scratch_load_b32 v4, off, off offset:220 th:TH_LOAD_LU ; 4-byte Folded Reload
	v_fma_f64 v[8:9], v[8:9], 2.0, -v[28:29]
	v_fma_f64 v[10:11], v[10:11], 2.0, -v[30:31]
	;; [unrolled: 1-line block ×4, first 2 shown]
	s_wait_loadcnt 0x0
	ds_store_b128 v4, v[8:11]
	ds_store_b128 v4, v[28:31] offset:272
	scratch_load_b32 v4, off, off offset:212 th:TH_LOAD_LU ; 4-byte Folded Reload
	s_wait_loadcnt 0x0
	ds_store_b128 v4, v[16:19]
	ds_store_b128 v4, v[32:35] offset:272
	scratch_load_b32 v4, off, off offset:204 th:TH_LOAD_LU ; 4-byte Folded Reload
	;; [unrolled: 4-line block ×3, first 2 shown]
	s_wait_loadcnt 0x0
	ds_store_b128 v4, v[0:3]
	ds_store_b128 v4, v[40:43] offset:272
	s_and_saveexec_b32 s1, s0
	s_cbranch_execz .LBB0_21
; %bb.20:
	s_clause 0x2
	scratch_load_b128 v[4:7], off, off offset:308 th:TH_LOAD_LU
	scratch_load_b32 v8, off, off th:TH_LOAD_LU
	scratch_load_b32 v9, off, off offset:60 th:TH_LOAD_LU
	s_wait_loadcnt 0x2
	v_mul_f64_e32 v[0:1], v[6:7], v[128:129]
	v_mul_f64_e32 v[2:3], v[6:7], v[130:131]
	s_wait_loadcnt 0x0
	v_lshl_add_u32 v8, v9, 4, v8
	s_delay_alu instid0(VALU_DEP_3) | instskip(NEXT) | instid1(VALU_DEP_3)
	v_fma_f64 v[0:1], v[4:5], v[130:131], -v[0:1]
	v_fma_f64 v[4:5], v[4:5], v[128:129], v[2:3]
	s_delay_alu instid0(VALU_DEP_2) | instskip(NEXT) | instid1(VALU_DEP_2)
	v_add_f64_e64 v[2:3], v[134:135], -v[0:1]
	v_add_f64_e64 v[0:1], v[132:133], -v[4:5]
	s_delay_alu instid0(VALU_DEP_2) | instskip(NEXT) | instid1(VALU_DEP_2)
	v_fma_f64 v[6:7], v[134:135], 2.0, -v[2:3]
	v_fma_f64 v[4:5], v[132:133], 2.0, -v[0:1]
	ds_store_b128 v8, v[4:7] offset:5440
	ds_store_b128 v8, v[0:3] offset:5712
.LBB0_21:
	s_wait_alu 0xfffe
	s_or_b32 exec_lo, exec_lo, s1
	global_wb scope:SCOPE_SE
	s_wait_dscnt 0x0
	s_barrier_signal -1
	s_barrier_wait -1
	global_inv scope:SCOPE_SE
	ds_load_b128 v[0:3], v211 offset:544
	ds_load_b128 v[8:11], v211 offset:5440
	;; [unrolled: 1-line block ×5, first 2 shown]
	scratch_load_b128 v[96:99], off, off offset:148 th:TH_LOAD_LU ; 16-byte Folded Reload
	ds_load_b128 v[24:27], v211 offset:4352
	ds_load_b128 v[28:31], v211 offset:2176
	;; [unrolled: 1-line block ×4, first 2 shown]
	s_clause 0x4
	scratch_load_b128 v[64:67], off, off offset:252 th:TH_LOAD_LU
	scratch_load_b128 v[104:107], off, off offset:180 th:TH_LOAD_LU
	;; [unrolled: 1-line block ×5, first 2 shown]
	ds_load_b128 v[40:43], v211 offset:3264
	s_mov_b32 s0, 0xf8bb580b
	s_mov_b32 s2, 0x8764f0ba
	;; [unrolled: 1-line block ×10, first 2 shown]
	s_wait_dscnt 0x9
	v_mul_f64_e32 v[4:5], v[58:59], v[2:3]
	v_mul_f64_e32 v[6:7], v[58:59], v[0:1]
	s_wait_dscnt 0x2
	v_mul_f64_e32 v[92:93], v[82:83], v[34:35]
	v_mul_f64_e32 v[82:83], v[82:83], v[32:33]
	s_mov_b32 s21, 0xbfefac9e
	s_mov_b32 s23, 0xbfc2375f
	;; [unrolled: 1-line block ×12, first 2 shown]
	s_wait_alu 0xfffe
	s_mov_b32 s8, s0
	s_mov_b32 s18, s10
	;; [unrolled: 1-line block ×8, first 2 shown]
	s_delay_alu instid0(VALU_DEP_4) | instskip(NEXT) | instid1(VALU_DEP_4)
	v_fma_f64 v[52:53], v[56:57], v[0:1], v[4:5]
	v_fma_f64 v[54:55], v[56:57], v[2:3], -v[6:7]
	ds_load_b128 v[0:3], v211
	scratch_load_b128 v[56:59], off, off offset:236 th:TH_LOAD_LU ; 16-byte Folded Reload
	s_wait_dscnt 0x1
	v_mul_f64_e32 v[94:95], v[78:79], v[42:43]
	v_mul_f64_e32 v[78:79], v[78:79], v[40:41]
	s_wait_loadcnt 0x6
	v_mul_f64_e32 v[44:45], v[98:99], v[8:9]
	s_wait_loadcnt 0x5
	;; [unrolled: 2-line block ×3, first 2 shown]
	v_mul_f64_e32 v[48:49], v[106:107], v[16:17]
	v_mul_f64_e32 v[50:51], v[66:67], v[14:15]
	s_wait_loadcnt 0x3
	v_mul_f64_e32 v[62:63], v[102:103], v[24:25]
	v_mul_f64_e32 v[84:85], v[106:107], v[18:19]
	;; [unrolled: 1-line block ×3, first 2 shown]
	s_wait_loadcnt 0x1
	v_mul_f64_e32 v[90:91], v[74:75], v[38:39]
	v_mul_f64_e32 v[66:67], v[98:99], v[10:11]
	;; [unrolled: 1-line block ×5, first 2 shown]
	v_fma_f64 v[4:5], v[96:97], v[10:11], -v[44:45]
	v_fma_f64 v[44:45], v[64:65], v[14:15], -v[46:47]
	;; [unrolled: 1-line block ×3, first 2 shown]
	v_fma_f64 v[18:19], v[64:65], v[12:13], v[50:51]
	s_wait_dscnt 0x0
	v_add_f64_e32 v[46:47], v[0:1], v[52:53]
	v_add_f64_e32 v[48:49], v[2:3], v[54:55]
	v_fma_f64 v[12:13], v[100:101], v[26:27], -v[62:63]
	v_fma_f64 v[14:15], v[100:101], v[24:25], v[88:89]
	v_fma_f64 v[26:27], v[72:73], v[36:37], v[90:91]
	v_fma_f64 v[36:37], v[76:77], v[42:43], -v[78:79]
	v_fma_f64 v[8:9], v[96:97], v[8:9], v[66:67]
	v_fma_f64 v[10:11], v[104:105], v[16:17], v[84:85]
	;; [unrolled: 1-line block ×3, first 2 shown]
	v_fma_f64 v[24:25], v[68:69], v[30:31], -v[70:71]
	v_fma_f64 v[28:29], v[72:73], v[38:39], -v[74:75]
	v_fma_f64 v[30:31], v[80:81], v[32:33], v[92:93]
	v_fma_f64 v[32:33], v[80:81], v[34:35], -v[82:83]
	v_fma_f64 v[34:35], v[76:77], v[40:41], v[94:95]
	s_wait_loadcnt 0x0
	v_mul_f64_e32 v[60:61], v[58:59], v[20:21]
	v_mul_f64_e32 v[58:59], v[58:59], v[22:23]
	v_add_f64_e64 v[38:39], v[54:55], -v[4:5]
	v_add_f64_e32 v[40:41], v[54:55], v[4:5]
	v_add_f64_e64 v[42:43], v[44:45], -v[6:7]
	v_add_f64_e32 v[50:51], v[44:45], v[6:7]
	v_add_f64_e32 v[46:47], v[46:47], v[18:19]
	;; [unrolled: 1-line block ×4, first 2 shown]
	v_add_f64_e64 v[70:71], v[16:17], -v[26:27]
	v_add_f64_e32 v[66:67], v[24:25], v[28:29]
	v_add_f64_e64 v[68:69], v[24:25], -v[28:29]
	v_add_f64_e32 v[74:75], v[32:33], v[36:37]
	v_add_f64_e32 v[72:73], v[30:31], v[34:35]
	v_add_f64_e64 v[76:77], v[30:31], -v[34:35]
	v_add_f64_e64 v[78:79], v[32:33], -v[36:37]
	v_fma_f64 v[22:23], v[56:57], v[22:23], -v[60:61]
	v_fma_f64 v[20:21], v[56:57], v[20:21], v[58:59]
	v_add_f64_e32 v[56:57], v[52:53], v[8:9]
	v_add_f64_e64 v[52:53], v[52:53], -v[8:9]
	v_add_f64_e32 v[58:59], v[18:19], v[10:11]
	v_add_f64_e64 v[18:19], v[18:19], -v[10:11]
	v_mul_f64_e32 v[80:81], s[0:1], v[38:39]
	v_mul_f64_e32 v[82:83], s[2:3], v[40:41]
	;; [unrolled: 1-line block ×14, first 2 shown]
	s_wait_alu 0xfffe
	v_mul_f64_e32 v[104:105], s[24:25], v[42:43]
	v_mul_f64_e32 v[106:107], s[22:23], v[50:51]
	;; [unrolled: 1-line block ×7, first 2 shown]
	v_add_f64_e64 v[48:49], v[22:23], -v[12:13]
	v_add_f64_e32 v[54:55], v[22:23], v[12:13]
	v_add_f64_e32 v[60:61], v[20:21], v[14:15]
	v_add_f64_e64 v[62:63], v[20:21], -v[14:15]
	v_add_f64_e32 v[20:21], v[46:47], v[20:21]
	v_add_f64_e32 v[22:23], v[44:45], v[22:23]
	v_mul_f64_e32 v[44:45], s[28:29], v[50:51]
	v_mul_f64_e32 v[46:47], s[38:39], v[42:43]
	;; [unrolled: 1-line block ×13, first 2 shown]
	v_fma_f64 v[157:158], v[56:57], s[16:17], v[84:85]
	v_fma_f64 v[159:160], v[52:53], s[18:19], v[86:87]
	v_fma_f64 v[84:85], v[56:57], s[16:17], -v[84:85]
	v_fma_f64 v[161:162], v[56:57], s[22:23], v[88:89]
	v_fma_f64 v[163:164], v[52:53], s[24:25], v[90:91]
	v_fma_f64 v[88:89], v[56:57], s[22:23], -v[88:89]
	;; [unrolled: 3-line block ×4, first 2 shown]
	v_fma_f64 v[40:41], v[52:53], s[34:35], v[40:41]
	v_fma_f64 v[94:95], v[52:53], s[26:27], v[94:95]
	;; [unrolled: 1-line block ×5, first 2 shown]
	v_fma_f64 v[100:101], v[58:59], s[28:29], -v[100:101]
	v_fma_f64 v[179:180], v[18:19], s[34:35], v[102:103]
	v_mul_f64_e32 v[108:109], s[20:21], v[48:49]
	v_mul_f64_e32 v[110:111], s[22:23], v[54:55]
	;; [unrolled: 1-line block ×4, first 2 shown]
	v_add_f64_e32 v[16:17], v[20:21], v[16:17]
	v_add_f64_e32 v[20:21], v[22:23], v[24:25]
	v_mul_f64_e32 v[22:23], s[22:23], v[74:75]
	v_fma_f64 v[24:25], v[56:57], s[2:3], v[80:81]
	v_fma_f64 v[74:75], v[52:53], s[8:9], v[82:83]
	v_fma_f64 v[80:81], v[56:57], s[2:3], -v[80:81]
	v_fma_f64 v[82:83], v[52:53], s[0:1], v[82:83]
	v_fma_f64 v[52:53], v[58:59], s[16:17], v[96:97]
	;; [unrolled: 1-line block ×3, first 2 shown]
	v_fma_f64 v[96:97], v[58:59], s[16:17], -v[96:97]
	v_fma_f64 v[98:99], v[18:19], s[10:11], v[98:99]
	v_fma_f64 v[175:176], v[18:19], s[30:31], v[44:45]
	v_mul_f64_e32 v[116:117], s[18:19], v[48:49]
	v_mul_f64_e32 v[118:119], s[16:17], v[54:55]
	v_fma_f64 v[177:178], v[58:59], s[36:37], v[46:47]
	v_add_f64_e32 v[157:158], v[0:1], v[157:158]
	v_add_f64_e32 v[159:160], v[2:3], v[159:160]
	;; [unrolled: 1-line block ×5, first 2 shown]
	v_mul_f64_e32 v[120:121], s[0:1], v[48:49]
	v_mul_f64_e32 v[122:123], s[2:3], v[54:55]
	v_fma_f64 v[46:47], v[58:59], s[36:37], -v[46:47]
	v_fma_f64 v[181:182], v[58:59], s[22:23], v[104:105]
	v_fma_f64 v[183:184], v[18:19], s[20:21], v[106:107]
	v_add_f64_e32 v[88:89], v[0:1], v[88:89]
	v_add_f64_e32 v[165:166], v[0:1], v[165:166]
	;; [unrolled: 1-line block ×3, first 2 shown]
	v_mul_f64_e32 v[48:49], s[26:27], v[48:49]
	v_mul_f64_e32 v[54:55], s[28:29], v[54:55]
	v_fma_f64 v[104:105], v[58:59], s[22:23], -v[104:105]
	v_add_f64_e32 v[92:93], v[0:1], v[92:93]
	v_add_f64_e32 v[169:170], v[0:1], v[169:170]
	;; [unrolled: 1-line block ×3, first 2 shown]
	v_fma_f64 v[44:45], v[18:19], s[26:27], v[44:45]
	v_fma_f64 v[102:103], v[18:19], s[38:39], v[102:103]
	v_add_f64_e32 v[90:91], v[2:3], v[90:91]
	v_add_f64_e32 v[86:87], v[2:3], v[86:87]
	;; [unrolled: 1-line block ×4, first 2 shown]
	v_fma_f64 v[30:31], v[18:19], s[24:25], v[106:107]
	v_add_f64_e32 v[24:25], v[0:1], v[24:25]
	v_fma_f64 v[32:33], v[58:59], s[2:3], v[42:43]
	v_add_f64_e32 v[80:81], v[0:1], v[80:81]
	v_add_f64_e32 v[82:83], v[2:3], v[82:83]
	v_fma_f64 v[106:107], v[18:19], s[0:1], v[50:51]
	v_fma_f64 v[42:43], v[58:59], s[2:3], -v[42:43]
	v_fma_f64 v[18:19], v[18:19], s[8:9], v[50:51]
	v_add_f64_e32 v[0:1], v[0:1], v[38:39]
	v_add_f64_e32 v[38:39], v[2:3], v[40:41]
	;; [unrolled: 1-line block ×4, first 2 shown]
	v_fma_f64 v[50:51], v[60:61], s[22:23], v[108:109]
	v_fma_f64 v[58:59], v[62:63], s[24:25], v[110:111]
	v_fma_f64 v[108:109], v[60:61], s[22:23], -v[108:109]
	v_fma_f64 v[110:111], v[62:63], s[20:21], v[110:111]
	v_fma_f64 v[185:186], v[60:61], s[36:37], v[112:113]
	;; [unrolled: 1-line block ×5, first 2 shown]
	v_add_f64_e32 v[84:85], v[100:101], v[84:85]
	v_add_f64_e32 v[100:101], v[179:180], v[163:164]
	v_fma_f64 v[116:117], v[60:61], s[16:17], -v[116:117]
	v_add_f64_e32 v[46:47], v[46:47], v[88:89]
	v_add_f64_e32 v[88:89], v[181:182], v[165:166]
	v_fma_f64 v[74:75], v[60:61], s[2:3], -v[120:121]
	v_fma_f64 v[94:95], v[62:63], s[0:1], v[122:123]
	v_fma_f64 v[118:119], v[62:63], s[18:19], v[118:119]
	v_fma_f64 v[112:113], v[60:61], s[36:37], -v[112:113]
	v_add_f64_e32 v[92:93], v[104:105], v[92:93]
	v_fma_f64 v[114:115], v[62:63], s[38:39], v[114:115]
	v_mul_f64_e32 v[144:145], s[8:9], v[78:79]
	v_fma_f64 v[193:194], v[64:65], s[22:23], v[128:129]
	v_fma_f64 v[195:196], v[70:71], s[20:21], v[130:131]
	v_mul_f64_e32 v[140:141], s[34:35], v[78:79]
	v_mul_f64_e32 v[149:150], s[26:27], v[78:79]
	v_add_f64_e32 v[16:17], v[16:17], v[34:35]
	v_add_f64_e32 v[20:21], v[20:21], v[36:37]
	v_fma_f64 v[34:35], v[60:61], s[2:3], v[120:121]
	v_add_f64_e32 v[24:25], v[52:53], v[24:25]
	v_fma_f64 v[36:37], v[62:63], s[8:9], v[122:123]
	v_add_f64_e32 v[52:53], v[96:97], v[80:81]
	v_add_f64_e32 v[80:81], v[98:99], v[82:83]
	;; [unrolled: 1-line block ×6, first 2 shown]
	v_fma_f64 v[120:121], v[60:61], s[28:29], v[48:49]
	v_fma_f64 v[122:123], v[62:63], s[30:31], v[54:55]
	v_add_f64_e32 v[32:33], v[32:33], v[169:170]
	v_add_f64_e32 v[104:105], v[106:107], v[171:172]
	v_fma_f64 v[48:49], v[60:61], s[28:29], -v[48:49]
	v_fma_f64 v[54:55], v[62:63], s[26:27], v[54:55]
	v_add_f64_e32 v[0:1], v[42:43], v[0:1]
	v_add_f64_e32 v[18:19], v[18:19], v[38:39]
	;; [unrolled: 1-line block ×6, first 2 shown]
	v_fma_f64 v[60:61], v[64:65], s[28:29], v[124:125]
	v_fma_f64 v[62:63], v[70:71], s[30:31], v[126:127]
	v_fma_f64 v[124:125], v[64:65], s[28:29], -v[124:125]
	v_fma_f64 v[126:127], v[70:71], s[26:27], v[126:127]
	v_mul_f64_e32 v[153:154], s[18:19], v[78:79]
	v_fma_f64 v[56:57], v[64:65], s[36:37], v[136:137]
	v_fma_f64 v[86:87], v[70:71], s[38:39], v[138:139]
	v_mul_f64_e32 v[78:79], s[20:21], v[78:79]
	v_fma_f64 v[42:43], v[64:65], s[2:3], -v[132:133]
	v_fma_f64 v[90:91], v[64:65], s[36:37], -v[136:137]
	v_fma_f64 v[106:107], v[64:65], s[16:17], v[68:69]
	v_add_f64_e32 v[46:47], v[116:117], v[46:47]
	v_add_f64_e32 v[74:75], v[74:75], v[92:93]
	v_fma_f64 v[128:129], v[64:65], s[22:23], -v[128:129]
	v_fma_f64 v[102:103], v[70:71], s[34:35], v[138:139]
	v_add_f64_e32 v[16:17], v[16:17], v[26:27]
	v_add_f64_e32 v[20:21], v[20:21], v[28:29]
	v_fma_f64 v[26:27], v[64:65], s[2:3], v[132:133]
	v_add_f64_e32 v[24:25], v[50:51], v[24:25]
	v_fma_f64 v[28:29], v[70:71], s[8:9], v[134:135]
	v_add_f64_e32 v[50:51], v[108:109], v[52:53]
	v_add_f64_e32 v[52:53], v[110:111], v[80:81]
	;; [unrolled: 1-line block ×8, first 2 shown]
	v_fma_f64 v[132:133], v[70:71], s[10:11], v[66:67]
	v_add_f64_e32 v[32:33], v[120:121], v[32:33]
	v_add_f64_e32 v[88:89], v[122:123], v[104:105]
	v_fma_f64 v[64:65], v[64:65], s[16:17], -v[68:69]
	v_fma_f64 v[66:67], v[70:71], s[18:19], v[66:67]
	v_add_f64_e32 v[0:1], v[48:49], v[0:1]
	v_add_f64_e32 v[18:19], v[54:55], v[18:19]
	;; [unrolled: 1-line block ×3, first 2 shown]
	v_fma_f64 v[44:45], v[70:71], s[0:1], v[134:135]
	v_add_f64_e32 v[38:39], v[118:119], v[38:39]
	v_fma_f64 v[130:131], v[70:71], s[24:25], v[130:131]
	v_add_f64_e32 v[84:85], v[112:113], v[84:85]
	v_add_f64_e32 v[40:41], v[114:115], v[40:41]
	;; [unrolled: 1-line block ×3, first 2 shown]
	v_fma_f64 v[70:71], v[76:77], s[38:39], v[142:143]
	v_fma_f64 v[136:137], v[76:77], s[34:35], v[142:143]
	v_fma_f64 v[54:55], v[76:77], s[8:9], v[146:147]
	v_fma_f64 v[92:93], v[76:77], s[30:31], v[151:152]
	v_fma_f64 v[100:101], v[76:77], s[26:27], v[151:152]
	v_fma_f64 v[108:109], v[76:77], s[10:11], v[155:156]
	v_fma_f64 v[112:113], v[76:77], s[18:19], v[155:156]
	v_fma_f64 v[116:117], v[76:77], s[24:25], v[22:23]
	v_fma_f64 v[68:69], v[72:73], s[36:37], v[140:141]
	v_fma_f64 v[134:135], v[72:73], s[36:37], -v[140:141]
	v_fma_f64 v[58:59], v[72:73], s[28:29], v[149:150]
	v_add_f64_e32 v[14:15], v[16:17], v[14:15]
	v_add_f64_e32 v[12:13], v[20:21], v[12:13]
	v_fma_f64 v[16:17], v[72:73], s[2:3], v[144:145]
	v_fma_f64 v[20:21], v[76:77], s[0:1], v[146:147]
	v_fma_f64 v[76:77], v[76:77], s[20:21], v[22:23]
	v_add_f64_e32 v[22:23], v[60:61], v[24:25]
	v_add_f64_e32 v[24:25], v[124:125], v[50:51]
	;; [unrolled: 1-line block ×7, first 2 shown]
	v_fma_f64 v[104:105], v[72:73], s[16:17], v[153:154]
	v_add_f64_e32 v[34:35], v[56:57], v[34:35]
	v_add_f64_e32 v[36:37], v[86:87], v[36:37]
	v_fma_f64 v[114:115], v[72:73], s[22:23], v[78:79]
	v_add_f64_e32 v[42:43], v[42:43], v[46:47]
	v_add_f64_e32 v[46:47], v[90:91], v[74:75]
	v_add_f64_e32 v[56:57], v[106:107], v[32:33]
	v_add_f64_e32 v[74:75], v[132:133], v[88:89]
	v_fma_f64 v[48:49], v[72:73], s[2:3], -v[144:145]
	v_fma_f64 v[94:95], v[72:73], s[28:29], -v[149:150]
	;; [unrolled: 1-line block ×4, first 2 shown]
	v_add_f64_e32 v[64:65], v[64:65], v[0:1]
	v_add_f64_e32 v[66:67], v[66:67], v[18:19]
	;; [unrolled: 1-line block ×7, first 2 shown]
	s_and_b32 s0, exec_lo, vcc_lo
	v_add_f64_e32 v[86:87], v[14:15], v[10:11]
	v_add_f64_e32 v[88:89], v[12:13], v[6:7]
	v_add_f64_e32 v[0:1], v[68:69], v[22:23]
	v_add_f64_e32 v[10:11], v[134:135], v[24:25]
	v_add_f64_e32 v[12:13], v[136:137], v[50:51]
	v_add_f64_e32 v[14:15], v[16:17], v[52:53]
	v_add_f64_e32 v[16:17], v[20:21], v[60:61]
	v_add_f64_e32 v[22:23], v[58:59], v[26:27]
	v_add_f64_e32 v[24:25], v[92:93], v[28:29]
	v_add_f64_e32 v[30:31], v[104:105], v[34:35]
	v_add_f64_e32 v[32:33], v[108:109], v[36:37]
	v_add_f64_e32 v[38:39], v[114:115], v[56:57]
	v_add_f64_e32 v[40:41], v[116:117], v[74:75]
	v_add_f64_e32 v[26:27], v[94:95], v[42:43]
	v_add_f64_e32 v[34:35], v[110:111], v[46:47]
	v_add_f64_e32 v[42:43], v[72:73], v[64:65]
	v_add_f64_e32 v[44:45], v[76:77], v[66:67]
	v_add_f64_e32 v[36:37], v[112:113], v[80:81]
	v_add_f64_e32 v[28:29], v[100:101], v[82:83]
	v_add_f64_e32 v[18:19], v[48:49], v[78:79]
	v_add_f64_e32 v[20:21], v[54:55], v[84:85]
	v_add_f64_e32 v[2:3], v[70:71], v[2:3]
	v_add_f64_e32 v[6:7], v[86:87], v[8:9]
	v_add_f64_e32 v[8:9], v[88:89], v[4:5]
	ds_store_b128 v212, v[14:17] offset:1088
	ds_store_b128 v212, v[22:25] offset:1632
	;; [unrolled: 1-line block ×9, first 2 shown]
	ds_store_b128 v212, v[6:9]
	ds_store_b128 v212, v[0:3] offset:544
	global_wb scope:SCOPE_SE
	s_wait_dscnt 0x0
	s_barrier_signal -1
	s_barrier_wait -1
	global_inv scope:SCOPE_SE
	scratch_load_b64 v[14:15], off, off offset:4 ; 8-byte Folded Reload
	s_wait_alu 0xfffe
	s_mov_b32 exec_lo, s0
	s_cbranch_execz .LBB0_23
; %bb.22:
	global_load_b128 v[0:3], v148, s[12:13]
	ds_load_b128 v[4:7], v212
	ds_load_b128 v[8:11], v212 offset:352
	s_mov_b32 s0, 0xb8d015e7
	s_mov_b32 s1, 0x3f65e75b
	s_mul_u64 s[2:3], s[4:5], 0x160
	s_wait_loadcnt_dscnt 0x1
	v_mul_f64_e32 v[12:13], v[6:7], v[2:3]
	v_mul_f64_e32 v[2:3], v[4:5], v[2:3]
	s_delay_alu instid0(VALU_DEP_2) | instskip(NEXT) | instid1(VALU_DEP_2)
	v_fma_f64 v[4:5], v[4:5], v[0:1], v[12:13]
	v_fma_f64 v[0:1], v[0:1], v[6:7], -v[2:3]
	v_mad_co_u64_u32 v[6:7], null, s6, v14, 0
	v_mad_co_u64_u32 v[12:13], null, s4, v255, 0
	s_wait_alu 0xfffe
	s_delay_alu instid0(VALU_DEP_4) | instskip(NEXT) | instid1(VALU_DEP_4)
	v_mul_f64_e32 v[2:3], s[0:1], v[4:5]
	v_mul_f64_e32 v[4:5], s[0:1], v[0:1]
	s_delay_alu instid0(VALU_DEP_3) | instskip(NEXT) | instid1(VALU_DEP_1)
	v_dual_mov_b32 v0, v7 :: v_dual_mov_b32 v1, v13
	v_mad_co_u64_u32 v[13:14], null, s7, v14, v[0:1]
	s_delay_alu instid0(VALU_DEP_1) | instskip(SKIP_1) | instid1(VALU_DEP_1)
	v_mov_b32_e32 v7, v13
	v_mad_co_u64_u32 v[0:1], null, s5, v255, v[1:2]
	v_mov_b32_e32 v13, v0
	s_delay_alu instid0(VALU_DEP_3) | instskip(NEXT) | instid1(VALU_DEP_2)
	v_lshlrev_b64_e32 v[0:1], 4, v[6:7]
	v_lshlrev_b64_e32 v[6:7], 4, v[12:13]
	s_delay_alu instid0(VALU_DEP_2) | instskip(NEXT) | instid1(VALU_DEP_3)
	v_add_co_u32 v0, vcc_lo, s14, v0
	v_add_co_ci_u32_e32 v1, vcc_lo, s15, v1, vcc_lo
	s_delay_alu instid0(VALU_DEP_2) | instskip(SKIP_1) | instid1(VALU_DEP_2)
	v_add_co_u32 v6, vcc_lo, v0, v6
	s_wait_alu 0xfffd
	v_add_co_ci_u32_e32 v7, vcc_lo, v1, v7, vcc_lo
	s_delay_alu instid0(VALU_DEP_2)
	v_add_co_u32 v14, vcc_lo, v6, s2
	global_store_b128 v[6:7], v[2:5], off
	global_load_b128 v[2:5], v148, s[12:13] offset:352
	s_wait_alu 0xfffd
	v_add_co_ci_u32_e32 v15, vcc_lo, s3, v7, vcc_lo
	s_wait_loadcnt_dscnt 0x0
	v_mul_f64_e32 v[12:13], v[10:11], v[4:5]
	v_mul_f64_e32 v[4:5], v[8:9], v[4:5]
	s_delay_alu instid0(VALU_DEP_2) | instskip(NEXT) | instid1(VALU_DEP_2)
	v_fma_f64 v[8:9], v[8:9], v[2:3], v[12:13]
	v_fma_f64 v[4:5], v[2:3], v[10:11], -v[4:5]
	s_delay_alu instid0(VALU_DEP_2) | instskip(NEXT) | instid1(VALU_DEP_2)
	v_mul_f64_e32 v[2:3], s[0:1], v[8:9]
	v_mul_f64_e32 v[4:5], s[0:1], v[4:5]
	global_store_b128 v[14:15], v[2:5], off
	global_load_b128 v[2:5], v148, s[12:13] offset:704
	ds_load_b128 v[6:9], v212 offset:704
	ds_load_b128 v[10:13], v212 offset:1056
	s_wait_loadcnt_dscnt 0x1
	v_mul_f64_e32 v[16:17], v[8:9], v[4:5]
	v_mul_f64_e32 v[4:5], v[6:7], v[4:5]
	s_delay_alu instid0(VALU_DEP_2) | instskip(NEXT) | instid1(VALU_DEP_2)
	v_fma_f64 v[6:7], v[6:7], v[2:3], v[16:17]
	v_fma_f64 v[4:5], v[2:3], v[8:9], -v[4:5]
	s_delay_alu instid0(VALU_DEP_2) | instskip(NEXT) | instid1(VALU_DEP_2)
	v_mul_f64_e32 v[2:3], s[0:1], v[6:7]
	v_mul_f64_e32 v[4:5], s[0:1], v[4:5]
	v_add_co_u32 v6, vcc_lo, v14, s2
	s_wait_alu 0xfffd
	v_add_co_ci_u32_e32 v7, vcc_lo, s3, v15, vcc_lo
	s_delay_alu instid0(VALU_DEP_2) | instskip(SKIP_1) | instid1(VALU_DEP_2)
	v_add_co_u32 v14, vcc_lo, v6, s2
	s_wait_alu 0xfffd
	v_add_co_ci_u32_e32 v15, vcc_lo, s3, v7, vcc_lo
	global_store_b128 v[6:7], v[2:5], off
	global_load_b128 v[2:5], v148, s[12:13] offset:1056
	s_wait_loadcnt_dscnt 0x0
	v_mul_f64_e32 v[8:9], v[12:13], v[4:5]
	v_mul_f64_e32 v[4:5], v[10:11], v[4:5]
	s_delay_alu instid0(VALU_DEP_2) | instskip(NEXT) | instid1(VALU_DEP_2)
	v_fma_f64 v[8:9], v[10:11], v[2:3], v[8:9]
	v_fma_f64 v[4:5], v[2:3], v[12:13], -v[4:5]
	s_delay_alu instid0(VALU_DEP_2) | instskip(NEXT) | instid1(VALU_DEP_2)
	v_mul_f64_e32 v[2:3], s[0:1], v[8:9]
	v_mul_f64_e32 v[4:5], s[0:1], v[4:5]
	global_store_b128 v[14:15], v[2:5], off
	global_load_b128 v[2:5], v148, s[12:13] offset:1408
	ds_load_b128 v[6:9], v212 offset:1408
	ds_load_b128 v[10:13], v212 offset:1760
	s_wait_loadcnt_dscnt 0x1
	v_mul_f64_e32 v[16:17], v[8:9], v[4:5]
	v_mul_f64_e32 v[4:5], v[6:7], v[4:5]
	s_delay_alu instid0(VALU_DEP_2) | instskip(NEXT) | instid1(VALU_DEP_2)
	v_fma_f64 v[6:7], v[6:7], v[2:3], v[16:17]
	v_fma_f64 v[4:5], v[2:3], v[8:9], -v[4:5]
	s_delay_alu instid0(VALU_DEP_2) | instskip(NEXT) | instid1(VALU_DEP_2)
	v_mul_f64_e32 v[2:3], s[0:1], v[6:7]
	v_mul_f64_e32 v[4:5], s[0:1], v[4:5]
	v_add_co_u32 v6, vcc_lo, v14, s2
	s_wait_alu 0xfffd
	v_add_co_ci_u32_e32 v7, vcc_lo, s3, v15, vcc_lo
	s_delay_alu instid0(VALU_DEP_2) | instskip(SKIP_1) | instid1(VALU_DEP_2)
	v_add_co_u32 v14, vcc_lo, v6, s2
	s_wait_alu 0xfffd
	v_add_co_ci_u32_e32 v15, vcc_lo, s3, v7, vcc_lo
	global_store_b128 v[6:7], v[2:5], off
	global_load_b128 v[2:5], v148, s[12:13] offset:1760
	;; [unrolled: 31-line block ×6, first 2 shown]
	s_wait_loadcnt_dscnt 0x0
	v_mul_f64_e32 v[8:9], v[12:13], v[4:5]
	v_mul_f64_e32 v[4:5], v[10:11], v[4:5]
	s_delay_alu instid0(VALU_DEP_2) | instskip(NEXT) | instid1(VALU_DEP_2)
	v_fma_f64 v[8:9], v[10:11], v[2:3], v[8:9]
	v_fma_f64 v[4:5], v[2:3], v[12:13], -v[4:5]
	s_delay_alu instid0(VALU_DEP_2) | instskip(NEXT) | instid1(VALU_DEP_2)
	v_mul_f64_e32 v[2:3], s[0:1], v[8:9]
	v_mul_f64_e32 v[4:5], s[0:1], v[4:5]
	global_store_b128 v[14:15], v[2:5], off
	global_load_b128 v[2:5], v148, s[12:13] offset:4928
	ds_load_b128 v[6:9], v212 offset:4928
	ds_load_b128 v[10:13], v212 offset:5280
	s_wait_loadcnt_dscnt 0x1
	v_mul_f64_e32 v[16:17], v[8:9], v[4:5]
	v_mul_f64_e32 v[4:5], v[6:7], v[4:5]
	s_delay_alu instid0(VALU_DEP_2) | instskip(NEXT) | instid1(VALU_DEP_2)
	v_fma_f64 v[6:7], v[6:7], v[2:3], v[16:17]
	v_fma_f64 v[4:5], v[2:3], v[8:9], -v[4:5]
	s_delay_alu instid0(VALU_DEP_2) | instskip(NEXT) | instid1(VALU_DEP_2)
	v_mul_f64_e32 v[2:3], s[0:1], v[6:7]
	v_mul_f64_e32 v[4:5], s[0:1], v[4:5]
	v_add_co_u32 v6, vcc_lo, v14, s2
	s_wait_alu 0xfffd
	v_add_co_ci_u32_e32 v7, vcc_lo, s3, v15, vcc_lo
	global_store_b128 v[6:7], v[2:5], off
	global_load_b128 v[2:5], v148, s[12:13] offset:5280
	v_add_co_u32 v6, vcc_lo, v6, s2
	s_wait_alu 0xfffd
	v_add_co_ci_u32_e32 v7, vcc_lo, s3, v7, vcc_lo
	s_wait_loadcnt_dscnt 0x0
	v_mul_f64_e32 v[8:9], v[12:13], v[4:5]
	v_mul_f64_e32 v[4:5], v[10:11], v[4:5]
	s_delay_alu instid0(VALU_DEP_2) | instskip(NEXT) | instid1(VALU_DEP_2)
	v_fma_f64 v[8:9], v[10:11], v[2:3], v[8:9]
	v_fma_f64 v[4:5], v[2:3], v[12:13], -v[4:5]
	s_delay_alu instid0(VALU_DEP_2) | instskip(NEXT) | instid1(VALU_DEP_2)
	v_mul_f64_e32 v[2:3], s[0:1], v[8:9]
	v_mul_f64_e32 v[4:5], s[0:1], v[4:5]
	global_store_b128 v[6:7], v[2:5], off
	global_load_b128 v[2:5], v148, s[12:13] offset:5632
	ds_load_b128 v[6:9], v212 offset:5632
	s_wait_loadcnt_dscnt 0x0
	v_mul_f64_e32 v[10:11], v[8:9], v[4:5]
	v_mul_f64_e32 v[4:5], v[6:7], v[4:5]
	s_delay_alu instid0(VALU_DEP_2) | instskip(SKIP_3) | instid1(VALU_DEP_2)
	v_fma_f64 v[6:7], v[6:7], v[2:3], v[10:11]
	scratch_load_b32 v10, off, off offset:300 th:TH_LOAD_LU ; 4-byte Folded Reload
	v_fma_f64 v[4:5], v[2:3], v[8:9], -v[4:5]
	v_mul_f64_e32 v[2:3], s[0:1], v[6:7]
	v_mul_f64_e32 v[4:5], s[0:1], v[4:5]
	s_wait_loadcnt 0x0
	v_mad_co_u64_u32 v[8:9], null, s4, v10, 0
	s_delay_alu instid0(VALU_DEP_1) | instskip(NEXT) | instid1(VALU_DEP_1)
	v_mov_b32_e32 v6, v9
	v_mad_co_u64_u32 v[6:7], null, s5, v10, v[6:7]
	s_delay_alu instid0(VALU_DEP_1) | instskip(NEXT) | instid1(VALU_DEP_1)
	v_mov_b32_e32 v9, v6
	v_lshlrev_b64_e32 v[6:7], 4, v[8:9]
	s_delay_alu instid0(VALU_DEP_1) | instskip(SKIP_1) | instid1(VALU_DEP_2)
	v_add_co_u32 v0, vcc_lo, v0, v6
	s_wait_alu 0xfffd
	v_add_co_ci_u32_e32 v1, vcc_lo, v1, v7, vcc_lo
	global_store_b128 v[0:1], v[2:5], off
.LBB0_23:
	s_nop 0
	s_sendmsg sendmsg(MSG_DEALLOC_VGPRS)
	s_endpgm
	.section	.rodata,"a",@progbits
	.p2align	6, 0x0
	.amdhsa_kernel bluestein_single_back_len374_dim1_dp_op_CI_CI
		.amdhsa_group_segment_fixed_size 41888
		.amdhsa_private_segment_fixed_size 680
		.amdhsa_kernarg_size 104
		.amdhsa_user_sgpr_count 2
		.amdhsa_user_sgpr_dispatch_ptr 0
		.amdhsa_user_sgpr_queue_ptr 0
		.amdhsa_user_sgpr_kernarg_segment_ptr 1
		.amdhsa_user_sgpr_dispatch_id 0
		.amdhsa_user_sgpr_private_segment_size 0
		.amdhsa_wavefront_size32 1
		.amdhsa_uses_dynamic_stack 0
		.amdhsa_enable_private_segment 1
		.amdhsa_system_sgpr_workgroup_id_x 1
		.amdhsa_system_sgpr_workgroup_id_y 0
		.amdhsa_system_sgpr_workgroup_id_z 0
		.amdhsa_system_sgpr_workgroup_info 0
		.amdhsa_system_vgpr_workitem_id 0
		.amdhsa_next_free_vgpr 256
		.amdhsa_next_free_sgpr 60
		.amdhsa_reserve_vcc 1
		.amdhsa_float_round_mode_32 0
		.amdhsa_float_round_mode_16_64 0
		.amdhsa_float_denorm_mode_32 3
		.amdhsa_float_denorm_mode_16_64 3
		.amdhsa_fp16_overflow 0
		.amdhsa_workgroup_processor_mode 1
		.amdhsa_memory_ordered 1
		.amdhsa_forward_progress 0
		.amdhsa_round_robin_scheduling 0
		.amdhsa_exception_fp_ieee_invalid_op 0
		.amdhsa_exception_fp_denorm_src 0
		.amdhsa_exception_fp_ieee_div_zero 0
		.amdhsa_exception_fp_ieee_overflow 0
		.amdhsa_exception_fp_ieee_underflow 0
		.amdhsa_exception_fp_ieee_inexact 0
		.amdhsa_exception_int_div_zero 0
	.end_amdhsa_kernel
	.text
.Lfunc_end0:
	.size	bluestein_single_back_len374_dim1_dp_op_CI_CI, .Lfunc_end0-bluestein_single_back_len374_dim1_dp_op_CI_CI
                                        ; -- End function
	.section	.AMDGPU.csdata,"",@progbits
; Kernel info:
; codeLenInByte = 25496
; NumSgprs: 62
; NumVgprs: 256
; ScratchSize: 680
; MemoryBound: 0
; FloatMode: 240
; IeeeMode: 1
; LDSByteSize: 41888 bytes/workgroup (compile time only)
; SGPRBlocks: 7
; VGPRBlocks: 31
; NumSGPRsForWavesPerEU: 62
; NumVGPRsForWavesPerEU: 256
; Occupancy: 5
; WaveLimiterHint : 1
; COMPUTE_PGM_RSRC2:SCRATCH_EN: 1
; COMPUTE_PGM_RSRC2:USER_SGPR: 2
; COMPUTE_PGM_RSRC2:TRAP_HANDLER: 0
; COMPUTE_PGM_RSRC2:TGID_X_EN: 1
; COMPUTE_PGM_RSRC2:TGID_Y_EN: 0
; COMPUTE_PGM_RSRC2:TGID_Z_EN: 0
; COMPUTE_PGM_RSRC2:TIDIG_COMP_CNT: 0
	.text
	.p2alignl 7, 3214868480
	.fill 96, 4, 3214868480
	.type	__hip_cuid_f868ffaae2f405d0,@object ; @__hip_cuid_f868ffaae2f405d0
	.section	.bss,"aw",@nobits
	.globl	__hip_cuid_f868ffaae2f405d0
__hip_cuid_f868ffaae2f405d0:
	.byte	0                               ; 0x0
	.size	__hip_cuid_f868ffaae2f405d0, 1

	.ident	"AMD clang version 19.0.0git (https://github.com/RadeonOpenCompute/llvm-project roc-6.4.0 25133 c7fe45cf4b819c5991fe208aaa96edf142730f1d)"
	.section	".note.GNU-stack","",@progbits
	.addrsig
	.addrsig_sym __hip_cuid_f868ffaae2f405d0
	.amdgpu_metadata
---
amdhsa.kernels:
  - .args:
      - .actual_access:  read_only
        .address_space:  global
        .offset:         0
        .size:           8
        .value_kind:     global_buffer
      - .actual_access:  read_only
        .address_space:  global
        .offset:         8
        .size:           8
        .value_kind:     global_buffer
      - .actual_access:  read_only
        .address_space:  global
        .offset:         16
        .size:           8
        .value_kind:     global_buffer
      - .actual_access:  read_only
        .address_space:  global
        .offset:         24
        .size:           8
        .value_kind:     global_buffer
      - .actual_access:  read_only
        .address_space:  global
        .offset:         32
        .size:           8
        .value_kind:     global_buffer
      - .offset:         40
        .size:           8
        .value_kind:     by_value
      - .address_space:  global
        .offset:         48
        .size:           8
        .value_kind:     global_buffer
      - .address_space:  global
        .offset:         56
        .size:           8
        .value_kind:     global_buffer
      - .address_space:  global
        .offset:         64
        .size:           8
        .value_kind:     global_buffer
      - .address_space:  global
        .offset:         72
        .size:           8
        .value_kind:     global_buffer
      - .offset:         80
        .size:           4
        .value_kind:     by_value
      - .address_space:  global
        .offset:         88
        .size:           8
        .value_kind:     global_buffer
      - .address_space:  global
        .offset:         96
        .size:           8
        .value_kind:     global_buffer
    .group_segment_fixed_size: 41888
    .kernarg_segment_align: 8
    .kernarg_segment_size: 104
    .language:       OpenCL C
    .language_version:
      - 2
      - 0
    .max_flat_workgroup_size: 238
    .name:           bluestein_single_back_len374_dim1_dp_op_CI_CI
    .private_segment_fixed_size: 680
    .sgpr_count:     62
    .sgpr_spill_count: 0
    .symbol:         bluestein_single_back_len374_dim1_dp_op_CI_CI.kd
    .uniform_work_group_size: 1
    .uses_dynamic_stack: false
    .vgpr_count:     256
    .vgpr_spill_count: 237
    .wavefront_size: 32
    .workgroup_processor_mode: 1
amdhsa.target:   amdgcn-amd-amdhsa--gfx1201
amdhsa.version:
  - 1
  - 2
...

	.end_amdgpu_metadata
